;; amdgpu-corpus repo=ggml-org/llama.cpp kind=compiled arch=gfx1250 opt=O3
	.amdgcn_target "amdgcn-amd-amdhsa--gfx1250"
	.amdhsa_code_object_version 6
	.section	.text._ZL15flash_attn_tileILi320ELi256ELi1ELi32ELb0EEvPKcS1_S1_S1_S1_PKiPfP15HIP_vector_typeIfLj2EEffffjfiS5_IjLj3EEiiiiiiiiiiiliiliiiiil,"axG",@progbits,_ZL15flash_attn_tileILi320ELi256ELi1ELi32ELb0EEvPKcS1_S1_S1_S1_PKiPfP15HIP_vector_typeIfLj2EEffffjfiS5_IjLj3EEiiiiiiiiiiiliiliiiiil,comdat
	.globl	_ZL15flash_attn_tileILi320ELi256ELi1ELi32ELb0EEvPKcS1_S1_S1_S1_PKiPfP15HIP_vector_typeIfLj2EEffffjfiS5_IjLj3EEiiiiiiiiiiiliiliiiiil ; -- Begin function _ZL15flash_attn_tileILi320ELi256ELi1ELi32ELb0EEvPKcS1_S1_S1_S1_PKiPfP15HIP_vector_typeIfLj2EEffffjfiS5_IjLj3EEiiiiiiiiiiiliiliiiiil
	.p2align	8
	.type	_ZL15flash_attn_tileILi320ELi256ELi1ELi32ELb0EEvPKcS1_S1_S1_S1_PKiPfP15HIP_vector_typeIfLj2EEffffjfiS5_IjLj3EEiiiiiiiiiiiliiliiiiil,@function
_ZL15flash_attn_tileILi320ELi256ELi1ELi32ELb0EEvPKcS1_S1_S1_S1_PKiPfP15HIP_vector_typeIfLj2EEffffjfiS5_IjLj3EEiiiiiiiiiiiliiliiiiil: ; @_ZL15flash_attn_tileILi320ELi256ELi1ELi32ELb0EEvPKcS1_S1_S1_S1_PKiPfP15HIP_vector_typeIfLj2EEffffjfiS5_IjLj3EEiiiiiiiiiiiliiliiiiil
; %bb.0:
	s_clause 0x1
	s_load_b128 s[36:39], s[0:1], 0x5c
	s_load_b64 s[40:41], s[0:1], 0x80
	s_bfe_u32 s5, ttmp6, 0x40014
	s_lshr_b32 s4, ttmp7, 16
	s_add_co_i32 s5, s5, 1
	s_bfe_u32 s7, ttmp6, 0x40008
	s_mul_i32 s5, s4, s5
	s_getreg_b32 s6, hwreg(HW_REG_IB_STS2, 6, 4)
	s_add_co_i32 s7, s7, s5
	s_load_b512 s[16:31], s[0:1], 0x0
	s_mov_b64 s[42:43], 0
	s_wait_kmcnt 0x0
	s_ashr_i32 s2, s39, 31
	s_delay_alu instid0(SALU_CYCLE_1) | instskip(NEXT) | instid1(SALU_CYCLE_1)
	s_lshr_b32 s2, s2, 27
	s_add_co_i32 s2, s39, s2
	s_delay_alu instid0(SALU_CYCLE_1) | instskip(NEXT) | instid1(SALU_CYCLE_1)
	s_ashr_i32 s2, s2, 5
	s_cvt_f32_u32 s3, s2
	s_sub_co_i32 s8, 0, s2
	s_delay_alu instid0(SALU_CYCLE_2) | instskip(SKIP_1) | instid1(TRANS32_DEP_1)
	v_rcp_iflag_f32_e32 v1, s3
	v_nop
	v_readfirstlane_b32 s3, v1
	s_mul_f32 s3, s3, 0x4f7ffffe
	s_delay_alu instid0(SALU_CYCLE_3) | instskip(NEXT) | instid1(SALU_CYCLE_3)
	s_cvt_u32_f32 s3, s3
	s_mul_i32 s8, s8, s3
	s_delay_alu instid0(SALU_CYCLE_1) | instskip(NEXT) | instid1(SALU_CYCLE_1)
	s_mul_hi_u32 s8, s3, s8
	s_add_co_i32 s3, s3, s8
	s_cmp_eq_u32 s6, 0
	s_cselect_b32 s4, s4, s7
	s_delay_alu instid0(SALU_CYCLE_1) | instskip(NEXT) | instid1(SALU_CYCLE_1)
	s_mul_hi_u32 s3, s4, s3
	s_mul_i32 s5, s3, s2
	s_add_co_i32 s7, s3, 1
	s_sub_co_i32 s5, s4, s5
	s_delay_alu instid0(SALU_CYCLE_1)
	s_sub_co_i32 s8, s5, s2
	s_cmp_ge_u32 s5, s2
	s_cselect_b32 s3, s7, s3
	s_cselect_b32 s5, s8, s5
	s_add_co_i32 s7, s3, 1
	s_cmp_ge_u32 s5, s2
	s_cselect_b32 s34, s7, s3
	s_abs_i32 s2, s41
	s_abs_i32 s8, s39
	s_cvt_f32_u32 s3, s2
	s_sub_co_i32 s5, 0, s2
	s_lshl_b32 s4, s4, 5
	s_mul_i32 s7, s34, s39
	v_rcp_iflag_f32_e32 v1, s3
	s_sub_co_i32 s33, s4, s7
	s_xor_b32 s4, s39, s41
	s_delay_alu instid0(SALU_CYCLE_1) | instskip(SKIP_1) | instid1(TRANS32_DEP_1)
	s_ashr_i32 s4, s4, 31
	v_nop
	v_readfirstlane_b32 s3, v1
	s_mul_f32 s3, s3, 0x4f7ffffe
	s_delay_alu instid0(SALU_CYCLE_3) | instskip(NEXT) | instid1(SALU_CYCLE_3)
	s_cvt_u32_f32 s3, s3
	s_mul_i32 s5, s5, s3
	s_delay_alu instid0(SALU_CYCLE_1) | instskip(NEXT) | instid1(SALU_CYCLE_1)
	s_mul_hi_u32 s5, s3, s5
	s_add_co_i32 s3, s3, s5
	s_delay_alu instid0(SALU_CYCLE_1) | instskip(NEXT) | instid1(SALU_CYCLE_1)
	s_mul_hi_u32 s3, s8, s3
	s_mul_i32 s5, s3, s2
	s_add_co_i32 s7, s3, 1
	s_sub_co_i32 s5, s8, s5
	s_delay_alu instid0(SALU_CYCLE_1)
	s_sub_co_i32 s8, s5, s2
	s_cmp_ge_u32 s5, s2
	s_cselect_b32 s3, s7, s3
	s_cselect_b32 s5, s8, s5
	s_add_co_i32 s7, s3, 1
	s_cmp_ge_u32 s5, s2
	s_load_b64 s[8:9], s[0:1], 0xb8
	s_cselect_b32 s2, s7, s3
	s_mov_b32 s3, 0
	s_xor_b32 s2, s2, s4
	s_delay_alu instid0(SALU_CYCLE_1) | instskip(NEXT) | instid1(SALU_CYCLE_1)
	s_sub_co_i32 s11, s2, s4
	s_abs_i32 s10, s11
	s_cmp_eq_u64 s[22:23], 0
	s_cvt_f32_u32 s2, s10
	s_delay_alu instid0(SALU_CYCLE_3) | instskip(SKIP_1) | instid1(TRANS32_DEP_1)
	v_rcp_iflag_f32_e32 v1, s2
	v_nop
	v_readfirstlane_b32 s12, v1
	s_cbranch_scc1 .LBB0_2
; %bb.1:
	s_wait_kmcnt 0x0
	s_abs_i32 s2, s8
	s_abs_i32 s7, s34
	s_cvt_f32_u32 s4, s2
	s_sub_co_i32 s5, 0, s2
	s_delay_alu instid0(SALU_CYCLE_2) | instskip(SKIP_1) | instid1(TRANS32_DEP_1)
	v_rcp_iflag_f32_e32 v1, s4
	v_nop
	v_readfirstlane_b32 s4, v1
	s_mul_f32 s4, s4, 0x4f7ffffe
	s_delay_alu instid0(SALU_CYCLE_3) | instskip(NEXT) | instid1(SALU_CYCLE_3)
	s_cvt_u32_f32 s4, s4
	s_mul_i32 s5, s5, s4
	s_delay_alu instid0(SALU_CYCLE_1) | instskip(NEXT) | instid1(SALU_CYCLE_1)
	s_mul_hi_u32 s5, s4, s5
	s_add_co_i32 s4, s4, s5
	s_delay_alu instid0(SALU_CYCLE_1) | instskip(SKIP_2) | instid1(SALU_CYCLE_1)
	s_mul_hi_u32 s8, s7, s4
	s_load_b64 s[4:5], s[0:1], 0xc8
	s_mul_i32 s8, s8, s2
	s_sub_co_i32 s7, s7, s8
	s_ashr_i32 s8, s34, 31
	s_sub_co_i32 s13, s7, s2
	s_cmp_ge_u32 s7, s2
	s_cselect_b32 s7, s13, s7
	s_delay_alu instid0(SALU_CYCLE_1) | instskip(SKIP_2) | instid1(SALU_CYCLE_1)
	s_sub_co_i32 s13, s7, s2
	s_cmp_ge_u32 s7, s2
	s_cselect_b32 s2, s13, s7
	s_xor_b32 s2, s2, s8
	s_delay_alu instid0(SALU_CYCLE_1) | instskip(NEXT) | instid1(SALU_CYCLE_1)
	s_sub_co_i32 s14, s2, s8
	s_ashr_i32 s15, s14, 31
	s_wait_kmcnt 0x0
	s_mul_u64 s[4:5], s[4:5], s[14:15]
	s_delay_alu instid0(SALU_CYCLE_1)
	s_add_nc_u64 s[42:43], s[22:23], s[4:5]
.LBB0_2:
	s_bfe_u32 s2, ttmp6, 0x4000c
	v_dual_lshrrev_b32 v1, 10, v0 :: v_dual_mov_b32 v3, 0
	s_add_co_i32 s2, s2, 1
	s_and_b32 s4, ttmp6, 15
	s_mul_i32 s2, ttmp9, s2
	s_delay_alu instid0(VALU_DEP_1)
	v_bfe_u32 v1, v1, 3, 7
	s_add_co_i32 s4, s4, s2
	s_cmp_eq_u32 s6, 0
	v_bfe_u32 v8, v0, 10, 10
	s_cselect_b32 s7, ttmp9, s4
	s_clause 0x1
	s_load_b96 s[44:46], s[0:1], 0x70
	s_load_b32 s2, s[0:1], 0x40
	v_add_nc_u32_e32 v70, s7, v1
	v_mul_u32_u24_e32 v72, 0xa00, v8
	v_dual_mov_b32 v29, v3 :: v_dual_lshlrev_b32 v10, 2, v8
	s_delay_alu instid0(VALU_DEP_3) | instskip(NEXT) | instid1(VALU_DEP_1)
	v_mul_hi_u32 v1, s36, v70
	v_dual_add_nc_u32 v1, v70, v1 :: v_dual_bitop2_b32 v28, 28, v10 bitop3:0x40
	s_wait_kmcnt 0x0
	s_mul_i32 s14, s33, s45
	s_ashr_i32 s5, s45, 31
	s_mov_b32 s4, s45
	v_lshrrev_b32_e32 v1, s37, v1
	s_ashr_i32 s45, s44, 31
	s_lshr_b64 s[4:5], s[4:5], 2
	s_lshr_b64 s[22:23], s[44:45], 2
	s_ashr_i32 s15, s14, 31
	v_mul_lo_u32 v1, v1, s38
	v_mul_u64_e32 v[6:7], s[4:5], v[28:29]
	v_and_b32_e32 v29, 0x3ff, v0
	s_delay_alu instid0(VALU_DEP_1) | instskip(SKIP_2) | instid1(VALU_DEP_1)
	v_dual_lshlrev_b32 v0, 4, v29 :: v_dual_lshlrev_b32 v9, 3, v29
	v_cmp_gt_u32_e32 vcc_lo, 16, v29
	v_dual_mov_b32 v1, v3 :: v_dual_sub_nc_u32 v2, v70, v1
	v_mul_u64_e32 v[4:5], s[22:23], v[2:3]
	s_mul_i32 s22, s34, s46
	s_delay_alu instid0(SALU_CYCLE_1) | instskip(NEXT) | instid1(SALU_CYCLE_1)
	s_ashr_i32 s23, s22, 31
	s_add_nc_u64 s[16:17], s[16:17], s[22:23]
	s_delay_alu instid0(SALU_CYCLE_1)
	s_add_nc_u64 s[14:15], s[16:17], s[14:15]
	s_delay_alu instid0(VALU_DEP_1) | instid1(SALU_CYCLE_1)
	v_lshl_add_u64 v[4:5], v[4:5], 2, s[14:15]
	s_delay_alu instid0(VALU_DEP_1) | instskip(NEXT) | instid1(VALU_DEP_1)
	v_add_nc_u64_e32 v[0:1], v[4:5], v[0:1]
	v_lshl_add_u64 v[4:5], v[6:7], 2, v[0:1]
	s_clause 0x1
	global_load_b128 v[12:15], v[4:5], off
	global_load_b128 v[16:19], v[4:5], off offset:512
	s_wait_loadcnt 0x1
	v_fma_mixlo_f16 v6, s2, v12, 0
	v_fma_mixlo_f16 v7, s2, v13, 0
	;; [unrolled: 1-line block ×3, first 2 shown]
	s_wait_loadcnt 0x0
	v_fma_mixlo_f16 v13, s2, v16, 0
	v_fma_mixlo_f16 v14, s2, v17, 0
	v_fma_mixlo_f16 v12, s2, v15, 0
	v_fma_mixlo_f16 v15, s2, v18, 0
	v_fma_mixlo_f16 v16, s2, v19, 0
	v_lshlrev_b32_e32 v7, 16, v7
	v_and_b32_e32 v6, 0xffff, v6
	v_lshlrev_b32_e32 v14, 16, v14
	v_and_b32_e32 v13, 0xffff, v13
	;; [unrolled: 2-line block ×4, first 2 shown]
	v_or_b32_e32 v6, v7, v6
	v_or_b32_e32 v14, v14, v13
	v_mad_u32_u24 v17, 0xa00, v8, v9
	v_or3_b32 v7, v12, v11, 0
	v_or3_b32 v13, v16, v15, 0
	;; [unrolled: 1-line block ×4, first 2 shown]
	ds_store_2addr_b64 v17, v[6:7], v[12:13] offset1:32
	s_and_saveexec_b32 s8, vcc_lo
	s_cbranch_execz .LBB0_4
; %bb.3:
	global_load_b128 v[4:7], v[4:5], off offset:1024
	s_wait_loadcnt 0x0
	v_fma_mixlo_f16 v11, s2, v4, 0
	v_mov_b32_e32 v4, v7
	s_delay_alu instid0(VALU_DEP_1) | instskip(NEXT) | instid1(VALU_DEP_1)
	v_pk_mul_f32 v[4:5], s[2:3], v[4:5] op_sel_hi:[0,1]
	v_cvt_pk_f16_f32 v4, v4, v5
	v_fma_mixlo_f16 v5, s2, v6, 0
	v_and_b32_e32 v6, 0xffff, v11
	s_delay_alu instid0(VALU_DEP_3) | instskip(NEXT) | instid1(VALU_DEP_3)
	v_and_b32_e32 v7, 0xffff0000, v4
	v_and_b32_e32 v5, 0xffff, v5
	s_delay_alu instid0(VALU_DEP_2) | instskip(NEXT) | instid1(VALU_DEP_1)
	v_dual_lshlrev_b32 v4, 16, v4 :: v_dual_bitop2_b32 v6, v7, v6 bitop3:0x54
	v_or3_b32 v5, v4, v5, 0
	s_delay_alu instid0(VALU_DEP_2)
	v_or3_b32 v4, 0, 0, v6
	v_add_nc_u32_e32 v6, v9, v72
	ds_store_b64 v6, v[4:5] offset:512
.LBB0_4:
	s_or_b32 exec_lo, exec_lo, s8
	v_bitop3_b32 v4, v10, 29, 1 bitop3:0xc8
	v_dual_mov_b32 v5, v3 :: v_dual_bitop2_b32 v3, 1, v10 bitop3:0x54
	s_delay_alu instid0(VALU_DEP_1) | instskip(NEXT) | instid1(VALU_DEP_2)
	v_mul_u64_e32 v[4:5], s[4:5], v[4:5]
	v_mul_u32_u24_e32 v11, 0x280, v3
	s_delay_alu instid0(VALU_DEP_2)
	v_lshl_add_u64 v[4:5], v[4:5], 2, v[0:1]
	s_clause 0x1
	global_load_b128 v[12:15], v[4:5], off
	global_load_b128 v[16:19], v[4:5], off offset:512
	s_wait_loadcnt 0x1
	v_fma_mixlo_f16 v6, s2, v12, 0
	v_fma_mixlo_f16 v7, s2, v13, 0
	v_fma_mixlo_f16 v12, s2, v14, 0
	v_fma_mixlo_f16 v13, s2, v15, 0
	s_wait_loadcnt 0x0
	v_fma_mixlo_f16 v14, s2, v16, 0
	v_fma_mixlo_f16 v15, s2, v17, 0
	;; [unrolled: 1-line block ×4, first 2 shown]
	v_dual_lshlrev_b32 v7, 16, v7 :: v_dual_lshlrev_b32 v13, 16, v13
	v_and_b32_e32 v6, 0xffff, v6
	s_delay_alu instid0(VALU_DEP_3) | instskip(SKIP_4) | instid1(VALU_DEP_4)
	v_dual_lshlrev_b32 v15, 16, v15 :: v_dual_lshlrev_b32 v17, 16, v17
	v_and_b32_e32 v14, 0xffff, v14
	v_and_b32_e32 v12, 0xffff, v12
	;; [unrolled: 1-line block ×3, first 2 shown]
	v_or_b32_e32 v6, v7, v6
	v_or_b32_e32 v14, v15, v14
	v_mad_u32_u24 v15, 0x280, v3, v9
	v_or3_b32 v7, v13, v12, 0
	v_or3_b32 v13, v17, v16, 0
	v_add_nc_u32_e32 v3, v9, v11
	v_or3_b32 v6, 0, 0, v6
	v_or3_b32 v12, 0, 0, v14
	ds_store_2addr_b64 v15, v[6:7], v[12:13] offset1:32
	s_and_saveexec_b32 s8, vcc_lo
	s_cbranch_execz .LBB0_6
; %bb.5:
	global_load_b128 v[4:7], v[4:5], off offset:1024
	s_wait_loadcnt 0x0
	v_fma_mixlo_f16 v11, s2, v4, 0
	v_mov_b32_e32 v4, v7
	s_delay_alu instid0(VALU_DEP_1) | instskip(NEXT) | instid1(VALU_DEP_1)
	v_pk_mul_f32 v[4:5], s[2:3], v[4:5] op_sel_hi:[0,1]
	v_cvt_pk_f16_f32 v4, v4, v5
	v_fma_mixlo_f16 v5, s2, v6, 0
	v_and_b32_e32 v6, 0xffff, v11
	s_delay_alu instid0(VALU_DEP_3) | instskip(NEXT) | instid1(VALU_DEP_3)
	v_and_b32_e32 v7, 0xffff0000, v4
	v_and_b32_e32 v5, 0xffff, v5
	s_delay_alu instid0(VALU_DEP_2) | instskip(NEXT) | instid1(VALU_DEP_1)
	v_dual_lshlrev_b32 v4, 16, v4 :: v_dual_bitop2_b32 v6, v7, v6 bitop3:0x54
	v_or3_b32 v5, v4, v5, 0
	s_delay_alu instid0(VALU_DEP_2)
	v_or3_b32 v4, 0, 0, v6
	ds_store_b64 v3, v[4:5] offset:512
.LBB0_6:
	s_or_b32 exec_lo, exec_lo, s8
	v_bitop3_b32 v4, v10, 30, 2 bitop3:0xc8
	v_mov_b32_e32 v5, 0
	s_delay_alu instid0(VALU_DEP_1) | instskip(NEXT) | instid1(VALU_DEP_1)
	v_mul_u64_e32 v[6:7], s[4:5], v[4:5]
	v_lshl_add_u64 v[6:7], v[6:7], 2, v[0:1]
	s_clause 0x1
	global_load_b128 v[12:15], v[6:7], off
	global_load_b128 v[16:19], v[6:7], off offset:512
	s_wait_loadcnt 0x1
	v_fma_mixlo_f16 v4, s2, v12, 0
	v_fma_mixlo_f16 v11, s2, v13, 0
	;; [unrolled: 1-line block ×4, first 2 shown]
	s_wait_loadcnt 0x0
	v_fma_mixlo_f16 v14, s2, v16, 0
	v_fma_mixlo_f16 v15, s2, v17, 0
	;; [unrolled: 1-line block ×4, first 2 shown]
	v_lshlrev_b32_e32 v11, 16, v11
	v_and_b32_e32 v4, 0xffff, v4
	v_dual_lshlrev_b32 v13, 16, v13 :: v_dual_lshlrev_b32 v15, 16, v15
	v_and_b32_e32 v14, 0xffff, v14
	v_and_b32_e32 v12, 0xffff, v12
	s_delay_alu instid0(VALU_DEP_4) | instskip(SKIP_1) | instid1(VALU_DEP_4)
	v_dual_lshlrev_b32 v17, 16, v17 :: v_dual_bitop2_b32 v4, v11, v4 bitop3:0x54
	v_and_b32_e32 v16, 0xffff, v16
	v_or_b32_e32 v11, v15, v14
	s_delay_alu instid0(VALU_DEP_4) | instskip(NEXT) | instid1(VALU_DEP_4)
	v_or3_b32 v13, v13, v12, 0
	v_or3_b32 v12, 0, 0, v4
	s_delay_alu instid0(VALU_DEP_4) | instskip(NEXT) | instid1(VALU_DEP_4)
	v_or3_b32 v15, v17, v16, 0
	v_or3_b32 v14, 0, 0, v11
	ds_store_2addr_b64 v3, v[12:13], v[14:15] offset0:80 offset1:112
	s_and_saveexec_b32 s8, vcc_lo
	s_cbranch_execz .LBB0_8
; %bb.7:
	global_load_b128 v[12:15], v[6:7], off offset:1024
	s_wait_loadcnt 0x0
	v_fma_mixlo_f16 v4, s2, v12, 0
	v_mov_b32_e32 v12, v15
	s_delay_alu instid0(VALU_DEP_2) | instskip(NEXT) | instid1(VALU_DEP_2)
	v_and_b32_e32 v4, 0xffff, v4
	v_pk_mul_f32 v[6:7], s[2:3], v[12:13] op_sel_hi:[0,1]
	s_delay_alu instid0(VALU_DEP_1) | instskip(SKIP_1) | instid1(VALU_DEP_2)
	v_cvt_pk_f16_f32 v6, v6, v7
	v_fma_mixlo_f16 v7, s2, v14, 0
	v_and_b32_e32 v11, 0xffff0000, v6
	s_delay_alu instid0(VALU_DEP_2) | instskip(NEXT) | instid1(VALU_DEP_2)
	v_and_b32_e32 v7, 0xffff, v7
	v_dual_lshlrev_b32 v6, 16, v6 :: v_dual_bitop2_b32 v4, v11, v4 bitop3:0x54
	s_delay_alu instid0(VALU_DEP_1) | instskip(NEXT) | instid1(VALU_DEP_2)
	v_or3_b32 v7, v6, v7, 0
	v_or3_b32 v6, 0, 0, v4
	ds_store_b64 v3, v[6:7] offset:1152
.LBB0_8:
	s_or_b32 exec_lo, exec_lo, s8
	v_bitop3_b32 v4, v10, 31, 3 bitop3:0xc8
	s_delay_alu instid0(VALU_DEP_1) | instskip(NEXT) | instid1(VALU_DEP_1)
	v_mul_u64_e32 v[4:5], s[4:5], v[4:5]
	v_lshl_add_u64 v[0:1], v[4:5], 2, v[0:1]
	s_clause 0x1
	global_load_b128 v[4:7], v[0:1], off
	global_load_b128 v[12:15], v[0:1], off offset:512
	s_wait_loadcnt 0x1
	v_fma_mixlo_f16 v4, s2, v4, 0
	v_fma_mixlo_f16 v5, s2, v5, 0
	s_wait_loadcnt 0x0
	v_fma_mixlo_f16 v11, s2, v12, 0
	v_fma_mixlo_f16 v12, s2, v13, 0
	;; [unrolled: 1-line block ×6, first 2 shown]
	v_lshlrev_b32_e32 v5, 16, v5
	v_and_b32_e32 v4, 0xffff, v4
	v_lshlrev_b32_e32 v12, 16, v12
	v_and_b32_e32 v11, 0xffff, v11
	;; [unrolled: 2-line block ×4, first 2 shown]
	v_or_b32_e32 v4, v5, v4
	v_or_b32_e32 v11, v12, v11
	v_or3_b32 v5, v7, v6, 0
	s_delay_alu instid0(VALU_DEP_4) | instskip(NEXT) | instid1(VALU_DEP_4)
	v_or3_b32 v7, v14, v13, 0
	v_or3_b32 v4, 0, 0, v4
	s_delay_alu instid0(VALU_DEP_4)
	v_or3_b32 v6, 0, 0, v11
	ds_store_2addr_b64 v3, v[4:5], v[6:7] offset0:160 offset1:192
	s_and_saveexec_b32 s4, vcc_lo
	s_cbranch_execz .LBB0_10
; %bb.9:
	global_load_b128 v[4:7], v[0:1], off offset:1024
	s_wait_loadcnt 0x0
	v_fma_mixlo_f16 v11, s2, v4, 0
	v_mov_b32_e32 v4, v7
	s_delay_alu instid0(VALU_DEP_1) | instskip(NEXT) | instid1(VALU_DEP_3)
	v_pk_mul_f32 v[0:1], s[2:3], v[4:5] op_sel_hi:[0,1]
	v_and_b32_e32 v4, 0xffff, v11
	s_delay_alu instid0(VALU_DEP_2) | instskip(SKIP_1) | instid1(VALU_DEP_2)
	v_cvt_pk_f16_f32 v0, v0, v1
	v_fma_mixlo_f16 v1, s2, v6, 0
	v_and_b32_e32 v5, 0xffff0000, v0
	s_delay_alu instid0(VALU_DEP_2) | instskip(SKIP_1) | instid1(VALU_DEP_3)
	v_and_b32_e32 v1, 0xffff, v1
	v_lshlrev_b32_e32 v0, 16, v0
	v_or_b32_e32 v4, v5, v4
	s_delay_alu instid0(VALU_DEP_2) | instskip(NEXT) | instid1(VALU_DEP_2)
	v_or3_b32 v1, v0, v1, 0
	v_or3_b32 v0, 0, 0, v4
	ds_store_b64 v3, v[0:1] offset:1792
.LBB0_10:
	s_or_b32 exec_lo, exec_lo, s4
	s_cmp_eq_u64 s[26:27], 0
	s_wait_dscnt 0x0
	s_barrier_signal -1
	s_barrier_wait -1
	s_cbranch_scc1 .LBB0_12
; %bb.11:
	s_load_b32 s2, s[0:1], 0xd0
	s_wait_kmcnt 0x0
	s_mul_i32 s2, s2, s34
	s_delay_alu instid0(SALU_CYCLE_1)
	s_add_co_i32 s2, s2, s7
	s_load_b32 s40, s[26:27], s2 offset:0x0 scale_offset
.LBB0_12:
	s_wait_xcnt 0x0
	s_bfe_u32 s2, ttmp6, 0x40010
	s_and_b32 s4, ttmp7, 0xffff
	s_add_co_i32 s2, s2, 1
	s_bfe_u32 s5, ttmp6, 0x40004
	s_mul_i32 s2, s4, s2
	v_lshlrev_b32_e32 v71, 2, v29
	s_add_co_i32 s5, s5, s2
	s_cmp_eq_u32 s6, 0
	v_mbcnt_lo_u32_b32 v73, -1, 0
	s_cselect_b32 s41, s4, s5
	s_mov_b32 s2, 0
	s_lshl_b32 s22, s41, 7
	s_wait_kmcnt 0x0
	s_cmp_lt_i32 s22, s40
	s_cbranch_scc1 .LBB0_15
; %bb.13:
	v_mbcnt_lo_u32_b32 v5, -1, 0
	s_delay_alu instid0(VALU_DEP_1)
	v_dual_mov_b32 v4, 32 :: v_dual_bitop2_b32 v78, 16, v5 bitop3:0x14
	v_xor_b32_e32 v77, 8, v5
	v_xor_b32_e32 v76, 4, v5
	;; [unrolled: 1-line block ×4, first 2 shown]
	s_and_not1_b32 vcc_lo, exec_lo, s2
	s_cbranch_vccz .LBB0_16
; %bb.14:
	v_dual_mov_b32 v111, 0 :: v_dual_mov_b32 v31, 0
	v_dual_mov_b32 v3, 0xfeffffff :: v_dual_mov_b32 v2, 0xfeffffff
	;; [unrolled: 1-line block ×3, first 2 shown]
	s_delay_alu instid0(VALU_DEP_3)
	v_dual_mov_b32 v30, v31 :: v_dual_mov_b32 v33, v31
	v_dual_mov_b32 v32, v31 :: v_dual_mov_b32 v114, 0
	;; [unrolled: 1-line block ×9, first 2 shown]
	s_branch .LBB0_19
.LBB0_15:
                                        ; implicit-def: $vgpr5
                                        ; implicit-def: $vgpr4
                                        ; implicit-def: $vgpr78
                                        ; implicit-def: $vgpr77
                                        ; implicit-def: $vgpr76
                                        ; implicit-def: $vgpr75
                                        ; implicit-def: $vgpr74
.LBB0_16:
	s_clause 0x1
	s_load_b64 s[14:15], s[0:1], 0x8c
	s_load_b128 s[4:7], s[0:1], 0x98
	s_mul_f32 s2, s12, 0x4f7ffffe
	s_sub_co_i32 s8, 0, s10
	s_mov_b32 s13, s3
	s_ashr_i32 s17, s9, 1
	s_cvt_u32_f32 s12, s2
	s_abs_i32 s2, s33
	s_ashr_i32 s16, s33, 31
	s_ashr_i32 s11, s11, 31
	s_mul_i32 s8, s8, s12
	s_ashr_i32 s35, s34, 31
	s_mul_hi_u32 s8, s12, s8
	v_dual_lshrrev_b32 v0, 3, v29 :: v_dual_bitop2_b32 v4, 28, v71 bitop3:0x40
	s_add_co_i32 s12, s12, s8
	v_mad_u32 v84, v2, s17, v29
	s_mul_u64 s[8:9], s[2:3], s[12:13]
	s_xor_b32 s8, s16, s11
	s_mul_i32 s3, s9, s10
	s_add_co_i32 s11, s9, 1
	s_sub_co_i32 s12, s2, s3
	s_load_b64 s[2:3], s[0:1], 0xa8
	s_wait_kmcnt 0x0
	s_ashr_i32 s26, s6, 2
	s_ashr_i32 s36, s14, 2
	s_sub_co_i32 s6, s12, s10
	s_cmp_ge_u32 s12, s10
	v_dual_add_nc_u32 v0, v0, v10 :: v_dual_lshlrev_b32 v1, 2, v4
	s_cselect_b32 s9, s11, s9
	s_cselect_b32 s6, s6, s12
	s_add_co_i32 s11, s9, 1
	s_cmp_ge_u32 s6, s10
	v_mul_lo_u32 v34, s36, v0
	s_cselect_b32 s6, s11, s9
	v_mul_lo_u32 v6, s26, v8
	s_xor_b32 s6, s6, s8
	s_mul_u64 s[4:5], s[4:5], s[34:35]
	s_sub_co_i32 s6, s6, s8
	s_add_nc_u64 s[4:5], s[18:19], s[4:5]
	s_mul_i32 s8, s6, s15
	v_mov_b32_e32 v39, 0
	s_ashr_i32 s9, s8, 31
	s_mul_u64 s[2:3], s[2:3], s[34:35]
	s_add_nc_u64 s[44:45], s[4:5], s[8:9]
	s_mul_i32 s4, s6, s7
	s_add_nc_u64 s[2:3], s[20:21], s[2:3]
	s_ashr_i32 s5, s4, 31
	s_lshl_b32 s6, s36, 5
	s_add_nc_u64 s[46:47], s[2:3], s[4:5]
	s_lshl_b32 s3, s26, 3
	v_add_nc_u32_e32 v36, s6, v34
	v_dual_add_nc_u32 v10, s3, v6 :: v_dual_ashrrev_i32 v7, 31, v6
	v_ashrrev_i32_e32 v35, 31, v34
	v_mad_u32_u24 v0, 0x90, v0, v1
	s_delay_alu instid0(VALU_DEP_3) | instskip(SKIP_1) | instid1(VALU_DEP_2)
	v_dual_add_nc_u32 v40, s6, v36 :: v_dual_add_nc_u32 v2, s3, v10
	v_dual_ashrrev_i32 v11, 31, v10 :: v_dual_ashrrev_i32 v37, 31, v36
	v_dual_lshlrev_b32 v44, 2, v71 :: v_dual_ashrrev_i32 v41, 31, v40
	s_delay_alu instid0(VALU_DEP_3) | instskip(SKIP_2) | instid1(VALU_DEP_3)
	v_dual_add_nc_u32 v42, s6, v40 :: v_dual_add_nc_u32 v12, s3, v2
	v_ashrrev_i32_e32 v3, 31, v2
	v_dual_mov_b32 v100, v39 :: v_dual_add_nc_u32 v79, 0x5000, v0
	v_dual_ashrrev_i32 v43, 31, v42 :: v_dual_ashrrev_i32 v13, 31, v12
	v_dual_mov_b32 v45, v39 :: v_dual_add_nc_u32 v80, 0x6200, v0
	v_dual_mov_b32 v102, v39 :: v_dual_add_nc_u32 v81, 0x7400, v0
	;; [unrolled: 1-line block ×3, first 2 shown]
	v_lshl_add_u32 v0, v8, 9, v44
	v_lshl_add_u32 v85, v8, 10, 0x9800
	s_movk_i32 s2, 0x5000
	v_lshlrev_b64_e32 v[46:47], 2, v[6:7]
	v_lshlrev_b64_e32 v[48:49], 2, v[10:11]
	;; [unrolled: 1-line block ×4, first 2 shown]
	v_mad_u32_u24 v83, 0x90, v29, s2
	v_dual_mov_b32 v101, v39 :: v_dual_add_nc_u32 v86, 0x5000, v0
	v_dual_mov_b32 v106, v39 :: v_dual_add_nc_u32 v87, 0x6000, v0
	;; [unrolled: 1-line block ×4, first 2 shown]
	v_dual_mov_b32 v0, 0xfeffffff :: v_dual_mov_b32 v105, v39
	v_dual_lshlrev_b32 v38, 2, v4 :: v_dual_bitop2_b32 v78, 16, v73 bitop3:0x14
	v_dual_mov_b32 v108, v39 :: v_dual_bitop2_b32 v77, 8, v73 bitop3:0x14
	v_dual_mov_b32 v109, v39 :: v_dual_bitop2_b32 v76, 4, v73 bitop3:0x14
	;; [unrolled: 1-line block ×4, first 2 shown]
	v_dual_add_nc_u32 v90, v85, v9 :: v_dual_mov_b32 v112, v39
	v_dual_mov_b32 v114, v39 :: v_dual_add_nc_u32 v91, 0x5000, v9
	v_dual_mov_b32 v113, v39 :: v_dual_add_nc_u32 v92, 0x5800, v9
	;; [unrolled: 1-line block ×6, first 2 shown]
	v_add_nc_u32_e32 v97, 0x8000, v9
	v_dual_mov_b32 v31, v39 :: v_dual_add_nc_u32 v98, 0x8800, v9
	v_dual_mov_b32 v1, 0xfeffffff :: v_dual_mov_b32 v2, 0xfeffffff
	v_mov_b32_e32 v3, 0xfeffffff
	s_ashr_i32 s37, s36, 31
	s_ashr_i32 s27, s26, 31
	s_add_nc_u64 s[48:49], s[0:1], 0xd0
.LBB0_17:                               ; =>This Inner Loop Header: Depth=1
	v_cmp_gt_i32_e32 vcc_lo, 32, v78
	v_dual_mov_b32 v117, v1 :: v_dual_mov_b32 v118, v0
	v_dual_add_nc_u32 v119, s22, v84 :: v_dual_mov_b32 v115, v3
	v_dual_mov_b32 v116, v2 :: v_dual_cndmask_b32 v0, v73, v78, vcc_lo
	v_cmp_gt_i32_e32 vcc_lo, 32, v77
	s_ashr_i32 s23, s22, 31
	v_dual_mov_b32 v125, 0 :: v_dual_mov_b32 v126, 0
	s_mul_u64 s[2:3], s[22:23], s[36:37]
	v_cndmask_b32_e32 v1, v73, v77, vcc_lo
	v_cmp_gt_i32_e32 vcc_lo, 32, v76
	s_lshl_b64 s[2:3], s[2:3], 2
	v_dual_mov_b32 v127, 0 :: v_dual_mov_b32 v128, 0
	s_add_nc_u64 s[6:7], s[44:45], s[2:3]
	v_cndmask_b32_e32 v2, v73, v76, vcc_lo
	v_cmp_gt_i32_e32 vcc_lo, 32, v75
	v_dual_lshlrev_b32 v124, 2, v0 :: v_dual_lshlrev_b32 v123, 2, v1
	v_lshl_add_u64 v[0:1], v[34:35], 2, s[6:7]
	v_lshl_add_u64 v[6:7], v[42:43], 2, s[6:7]
	v_cndmask_b32_e32 v3, v73, v75, vcc_lo
	v_cmp_gt_i32_e32 vcc_lo, 32, v74
	v_dual_mov_b32 v129, 0 :: v_dual_mov_b32 v130, 0
	v_add_nc_u64_e32 v[54:55], v[0:1], v[38:39]
	v_add_nc_u64_e32 v[60:61], v[6:7], v[38:39]
	v_cndmask_b32_e32 v4, v73, v74, vcc_lo
	v_dual_lshlrev_b32 v122, 2, v2 :: v_dual_lshlrev_b32 v121, 2, v3
	v_lshl_add_u64 v[2:3], v[36:37], 2, s[6:7]
	v_dual_mov_b32 v131, 0 :: v_dual_mov_b32 v132, 0
	s_delay_alu instid0(VALU_DEP_4) | instskip(SKIP_1) | instid1(VALU_DEP_4)
	v_lshlrev_b32_e32 v120, 2, v4
	v_lshl_add_u64 v[4:5], v[40:41], 2, s[6:7]
	v_add_nc_u64_e32 v[56:57], v[2:3], v[38:39]
	v_dual_mov_b32 v133, 0 :: v_dual_mov_b32 v134, 0
	v_dual_mov_b32 v135, 0 :: v_dual_mov_b32 v136, 0
	s_delay_alu instid0(VALU_DEP_4)
	v_add_nc_u64_e32 v[58:59], v[4:5], v[38:39]
	s_clause 0x3
	global_load_b128 v[0:3], v[54:55], off
	global_load_b128 v[4:7], v[56:57], off
	global_load_b128 v[8:11], v[58:59], off
	global_load_b128 v[12:15], v[60:61], off
	v_dual_mov_b32 v137, 0 :: v_dual_mov_b32 v138, 0
	v_dual_mov_b32 v139, 0 :: v_dual_mov_b32 v140, 0
	s_mul_u64 s[4:5], s[22:23], s[26:27]
	s_wait_loadcnt 0x3
	ds_store_b128 v79, v[0:3]
	s_wait_loadcnt 0x2
	ds_store_b128 v80, v[4:7]
	;; [unrolled: 2-line block ×4, first 2 shown]
	s_wait_dscnt 0x0
	s_barrier_signal -1
	s_barrier_wait -1
	ds_load_b128 v[0:3], v83
	ds_load_b128 v[4:7], v72
	ds_load_b128 v[8:11], v72 offset:640
	ds_load_b128 v[12:15], v72 offset:1280
	ds_load_b128 v[16:19], v72 offset:1920
	ds_load_b128 v[20:23], v83 offset:4608
	ds_load_b128 v[24:27], v83 offset:9216
	ds_load_b128 v[142:145], v83 offset:13824
	s_wait_dscnt 0x6
	;;#ASMSTART
	v_dot2_f32_f16 v125, v0, v4, v125
	;;#ASMEND
	;;#ASMSTART
	v_dot2_f32_f16 v125, v1, v5, v125
	;;#ASMEND
	;;#ASMSTART
	v_dot2_f32_f16 v125, v2, v6, v125
	;;#ASMEND
	;;#ASMSTART
	v_dot2_f32_f16 v125, v3, v7, v125
	;;#ASMEND
	s_wait_dscnt 0x5
	;;#ASMSTART
	v_dot2_f32_f16 v126, v0, v8, v126
	;;#ASMEND
	;;#ASMSTART
	v_dot2_f32_f16 v126, v1, v9, v126
	;;#ASMEND
	;;#ASMSTART
	v_dot2_f32_f16 v126, v2, v10, v126
	;;#ASMEND
	;;#ASMSTART
	v_dot2_f32_f16 v126, v3, v11, v126
	;;#ASMEND
	;; [unrolled: 13-line block ×5, first 2 shown]
	;;#ASMSTART
	v_dot2_f32_f16 v130, v20, v8, v130
	;;#ASMEND
	;;#ASMSTART
	v_dot2_f32_f16 v130, v21, v9, v130
	;;#ASMEND
	;; [unrolled: 3-line block ×12, first 2 shown]
	s_wait_dscnt 0x1
	;;#ASMSTART
	v_dot2_f32_f16 v133, v24, v4, v133
	;;#ASMEND
	;;#ASMSTART
	v_dot2_f32_f16 v133, v25, v5, v133
	;;#ASMEND
	;; [unrolled: 3-line block ×16, first 2 shown]
	s_wait_dscnt 0x0
	;;#ASMSTART
	v_dot2_f32_f16 v137, v142, v4, v137
	;;#ASMEND
	;;#ASMSTART
	v_dot2_f32_f16 v137, v143, v5, v137
	;;#ASMEND
	;;#ASMSTART
	v_dot2_f32_f16 v137, v144, v6, v137
	;;#ASMEND
	;;#ASMSTART
	v_dot2_f32_f16 v137, v145, v7, v137
	;;#ASMEND
	;;#ASMSTART
	v_dot2_f32_f16 v138, v142, v8, v138
	;;#ASMEND
	;;#ASMSTART
	v_dot2_f32_f16 v138, v143, v9, v138
	;;#ASMEND
	;;#ASMSTART
	v_dot2_f32_f16 v138, v144, v10, v138
	;;#ASMEND
	;;#ASMSTART
	v_dot2_f32_f16 v138, v145, v11, v138
	;;#ASMEND
	;;#ASMSTART
	v_dot2_f32_f16 v139, v142, v12, v139
	;;#ASMEND
	;;#ASMSTART
	v_dot2_f32_f16 v139, v143, v13, v139
	;;#ASMEND
	;;#ASMSTART
	v_dot2_f32_f16 v139, v144, v14, v139
	;;#ASMEND
	;;#ASMSTART
	v_dot2_f32_f16 v139, v145, v15, v139
	;;#ASMEND
	;;#ASMSTART
	v_dot2_f32_f16 v140, v142, v16, v140
	;;#ASMEND
	;;#ASMSTART
	v_dot2_f32_f16 v140, v143, v17, v140
	;;#ASMEND
	;;#ASMSTART
	v_dot2_f32_f16 v140, v144, v18, v140
	;;#ASMEND
	;;#ASMSTART
	v_dot2_f32_f16 v140, v145, v19, v140
	;;#ASMEND
	ds_load_b128 v[0:3], v83 offset:16
	ds_load_b128 v[4:7], v72 offset:16
	;; [unrolled: 1-line block ×8, first 2 shown]
	s_wait_dscnt 0x6
	;;#ASMSTART
	v_dot2_f32_f16 v125, v0, v4, v125
	;;#ASMEND
	;;#ASMSTART
	v_dot2_f32_f16 v125, v1, v5, v125
	;;#ASMEND
	;;#ASMSTART
	v_dot2_f32_f16 v125, v2, v6, v125
	;;#ASMEND
	;;#ASMSTART
	v_dot2_f32_f16 v125, v3, v7, v125
	;;#ASMEND
	s_wait_dscnt 0x5
	;;#ASMSTART
	v_dot2_f32_f16 v126, v0, v8, v126
	;;#ASMEND
	;;#ASMSTART
	v_dot2_f32_f16 v126, v1, v9, v126
	;;#ASMEND
	;;#ASMSTART
	v_dot2_f32_f16 v126, v2, v10, v126
	;;#ASMEND
	;;#ASMSTART
	v_dot2_f32_f16 v126, v3, v11, v126
	;;#ASMEND
	;; [unrolled: 13-line block ×5, first 2 shown]
	;;#ASMSTART
	v_dot2_f32_f16 v130, v20, v8, v130
	;;#ASMEND
	;;#ASMSTART
	v_dot2_f32_f16 v130, v21, v9, v130
	;;#ASMEND
	;; [unrolled: 3-line block ×12, first 2 shown]
	s_wait_dscnt 0x1
	;;#ASMSTART
	v_dot2_f32_f16 v133, v24, v4, v133
	;;#ASMEND
	;;#ASMSTART
	v_dot2_f32_f16 v133, v25, v5, v133
	;;#ASMEND
	;; [unrolled: 3-line block ×16, first 2 shown]
	s_wait_dscnt 0x0
	;;#ASMSTART
	v_dot2_f32_f16 v137, v142, v4, v137
	;;#ASMEND
	;;#ASMSTART
	v_dot2_f32_f16 v137, v143, v5, v137
	;;#ASMEND
	;; [unrolled: 3-line block ×16, first 2 shown]
	ds_load_b128 v[0:3], v83 offset:32
	ds_load_b128 v[4:7], v72 offset:32
	;; [unrolled: 1-line block ×8, first 2 shown]
	s_wait_dscnt 0x6
	;;#ASMSTART
	v_dot2_f32_f16 v125, v0, v4, v125
	;;#ASMEND
	;;#ASMSTART
	v_dot2_f32_f16 v125, v1, v5, v125
	;;#ASMEND
	;;#ASMSTART
	v_dot2_f32_f16 v125, v2, v6, v125
	;;#ASMEND
	;;#ASMSTART
	v_dot2_f32_f16 v125, v3, v7, v125
	;;#ASMEND
	s_wait_dscnt 0x5
	;;#ASMSTART
	v_dot2_f32_f16 v126, v0, v8, v126
	;;#ASMEND
	;;#ASMSTART
	v_dot2_f32_f16 v126, v1, v9, v126
	;;#ASMEND
	;;#ASMSTART
	v_dot2_f32_f16 v126, v2, v10, v126
	;;#ASMEND
	;;#ASMSTART
	v_dot2_f32_f16 v126, v3, v11, v126
	;;#ASMEND
	;; [unrolled: 13-line block ×5, first 2 shown]
	;;#ASMSTART
	v_dot2_f32_f16 v130, v20, v8, v130
	;;#ASMEND
	;;#ASMSTART
	v_dot2_f32_f16 v130, v21, v9, v130
	;;#ASMEND
	;; [unrolled: 3-line block ×12, first 2 shown]
	s_wait_dscnt 0x1
	;;#ASMSTART
	v_dot2_f32_f16 v133, v24, v4, v133
	;;#ASMEND
	;;#ASMSTART
	v_dot2_f32_f16 v133, v25, v5, v133
	;;#ASMEND
	;; [unrolled: 3-line block ×16, first 2 shown]
	s_wait_dscnt 0x0
	;;#ASMSTART
	v_dot2_f32_f16 v137, v142, v4, v137
	;;#ASMEND
	;;#ASMSTART
	v_dot2_f32_f16 v137, v143, v5, v137
	;;#ASMEND
	;; [unrolled: 3-line block ×16, first 2 shown]
	ds_load_b128 v[0:3], v83 offset:48
	ds_load_b128 v[4:7], v72 offset:48
	;; [unrolled: 1-line block ×8, first 2 shown]
	s_wait_dscnt 0x6
	;;#ASMSTART
	v_dot2_f32_f16 v125, v0, v4, v125
	;;#ASMEND
	;;#ASMSTART
	v_dot2_f32_f16 v125, v1, v5, v125
	;;#ASMEND
	;;#ASMSTART
	v_dot2_f32_f16 v125, v2, v6, v125
	;;#ASMEND
	;;#ASMSTART
	v_dot2_f32_f16 v125, v3, v7, v125
	;;#ASMEND
	s_wait_dscnt 0x5
	;;#ASMSTART
	v_dot2_f32_f16 v126, v0, v8, v126
	;;#ASMEND
	;;#ASMSTART
	v_dot2_f32_f16 v126, v1, v9, v126
	;;#ASMEND
	;;#ASMSTART
	v_dot2_f32_f16 v126, v2, v10, v126
	;;#ASMEND
	;;#ASMSTART
	v_dot2_f32_f16 v126, v3, v11, v126
	;;#ASMEND
	;; [unrolled: 13-line block ×5, first 2 shown]
	;;#ASMSTART
	v_dot2_f32_f16 v130, v20, v8, v130
	;;#ASMEND
	;;#ASMSTART
	v_dot2_f32_f16 v130, v21, v9, v130
	;;#ASMEND
	;; [unrolled: 3-line block ×12, first 2 shown]
	s_wait_dscnt 0x1
	;;#ASMSTART
	v_dot2_f32_f16 v133, v24, v4, v133
	;;#ASMEND
	;;#ASMSTART
	v_dot2_f32_f16 v133, v25, v5, v133
	;;#ASMEND
	;; [unrolled: 3-line block ×16, first 2 shown]
	s_wait_dscnt 0x0
	;;#ASMSTART
	v_dot2_f32_f16 v137, v142, v4, v137
	;;#ASMEND
	;;#ASMSTART
	v_dot2_f32_f16 v137, v143, v5, v137
	;;#ASMEND
	;; [unrolled: 3-line block ×16, first 2 shown]
	ds_load_b128 v[0:3], v83 offset:64
	ds_load_b128 v[4:7], v72 offset:64
	;; [unrolled: 1-line block ×8, first 2 shown]
	s_wait_dscnt 0x6
	;;#ASMSTART
	v_dot2_f32_f16 v125, v0, v4, v125
	;;#ASMEND
	;;#ASMSTART
	v_dot2_f32_f16 v125, v1, v5, v125
	;;#ASMEND
	;;#ASMSTART
	v_dot2_f32_f16 v125, v2, v6, v125
	;;#ASMEND
	;;#ASMSTART
	v_dot2_f32_f16 v125, v3, v7, v125
	;;#ASMEND
	s_wait_dscnt 0x5
	;;#ASMSTART
	v_dot2_f32_f16 v126, v0, v8, v126
	;;#ASMEND
	;;#ASMSTART
	v_dot2_f32_f16 v126, v1, v9, v126
	;;#ASMEND
	;;#ASMSTART
	v_dot2_f32_f16 v126, v2, v10, v126
	;;#ASMEND
	;;#ASMSTART
	v_dot2_f32_f16 v126, v3, v11, v126
	;;#ASMEND
	;; [unrolled: 13-line block ×5, first 2 shown]
	;;#ASMSTART
	v_dot2_f32_f16 v130, v20, v8, v130
	;;#ASMEND
	;;#ASMSTART
	v_dot2_f32_f16 v130, v21, v9, v130
	;;#ASMEND
	;; [unrolled: 3-line block ×12, first 2 shown]
	s_wait_dscnt 0x1
	;;#ASMSTART
	v_dot2_f32_f16 v133, v24, v4, v133
	;;#ASMEND
	;;#ASMSTART
	v_dot2_f32_f16 v133, v25, v5, v133
	;;#ASMEND
	;;#ASMSTART
	v_dot2_f32_f16 v133, v26, v6, v133
	;;#ASMEND
	;;#ASMSTART
	v_dot2_f32_f16 v133, v27, v7, v133
	;;#ASMEND
	;;#ASMSTART
	v_dot2_f32_f16 v134, v24, v8, v134
	;;#ASMEND
	;;#ASMSTART
	v_dot2_f32_f16 v134, v25, v9, v134
	;;#ASMEND
	;;#ASMSTART
	v_dot2_f32_f16 v134, v26, v10, v134
	;;#ASMEND
	;;#ASMSTART
	v_dot2_f32_f16 v134, v27, v11, v134
	;;#ASMEND
	;;#ASMSTART
	v_dot2_f32_f16 v135, v24, v12, v135
	;;#ASMEND
	;;#ASMSTART
	v_dot2_f32_f16 v135, v25, v13, v135
	;;#ASMEND
	;;#ASMSTART
	v_dot2_f32_f16 v135, v26, v14, v135
	;;#ASMEND
	;;#ASMSTART
	v_dot2_f32_f16 v135, v27, v15, v135
	;;#ASMEND
	;;#ASMSTART
	v_dot2_f32_f16 v136, v24, v16, v136
	;;#ASMEND
	;;#ASMSTART
	v_dot2_f32_f16 v136, v25, v17, v136
	;;#ASMEND
	;;#ASMSTART
	v_dot2_f32_f16 v136, v26, v18, v136
	;;#ASMEND
	;;#ASMSTART
	v_dot2_f32_f16 v136, v27, v19, v136
	;;#ASMEND
	s_wait_dscnt 0x0
	;;#ASMSTART
	v_dot2_f32_f16 v137, v142, v4, v137
	;;#ASMEND
	;;#ASMSTART
	v_dot2_f32_f16 v137, v143, v5, v137
	;;#ASMEND
	;; [unrolled: 3-line block ×16, first 2 shown]
	ds_load_b128 v[0:3], v83 offset:80
	ds_load_b128 v[4:7], v72 offset:80
	;; [unrolled: 1-line block ×8, first 2 shown]
	s_wait_dscnt 0x6
	;;#ASMSTART
	v_dot2_f32_f16 v125, v0, v4, v125
	;;#ASMEND
	;;#ASMSTART
	v_dot2_f32_f16 v125, v1, v5, v125
	;;#ASMEND
	;;#ASMSTART
	v_dot2_f32_f16 v125, v2, v6, v125
	;;#ASMEND
	;;#ASMSTART
	v_dot2_f32_f16 v125, v3, v7, v125
	;;#ASMEND
	s_wait_dscnt 0x5
	;;#ASMSTART
	v_dot2_f32_f16 v126, v0, v8, v126
	;;#ASMEND
	;;#ASMSTART
	v_dot2_f32_f16 v126, v1, v9, v126
	;;#ASMEND
	;;#ASMSTART
	v_dot2_f32_f16 v126, v2, v10, v126
	;;#ASMEND
	;;#ASMSTART
	v_dot2_f32_f16 v126, v3, v11, v126
	;;#ASMEND
	;; [unrolled: 13-line block ×5, first 2 shown]
	;;#ASMSTART
	v_dot2_f32_f16 v130, v20, v8, v130
	;;#ASMEND
	;;#ASMSTART
	v_dot2_f32_f16 v130, v21, v9, v130
	;;#ASMEND
	;; [unrolled: 3-line block ×12, first 2 shown]
	s_wait_dscnt 0x1
	;;#ASMSTART
	v_dot2_f32_f16 v133, v24, v4, v133
	;;#ASMEND
	;;#ASMSTART
	v_dot2_f32_f16 v133, v25, v5, v133
	;;#ASMEND
	;; [unrolled: 3-line block ×16, first 2 shown]
	s_wait_dscnt 0x0
	;;#ASMSTART
	v_dot2_f32_f16 v137, v142, v4, v137
	;;#ASMEND
	;;#ASMSTART
	v_dot2_f32_f16 v137, v143, v5, v137
	;;#ASMEND
	;; [unrolled: 3-line block ×16, first 2 shown]
	ds_load_b128 v[0:3], v83 offset:96
	ds_load_b128 v[4:7], v72 offset:96
	;; [unrolled: 1-line block ×8, first 2 shown]
	s_wait_dscnt 0x6
	;;#ASMSTART
	v_dot2_f32_f16 v125, v0, v4, v125
	;;#ASMEND
	;;#ASMSTART
	v_dot2_f32_f16 v125, v1, v5, v125
	;;#ASMEND
	;;#ASMSTART
	v_dot2_f32_f16 v125, v2, v6, v125
	;;#ASMEND
	;;#ASMSTART
	v_dot2_f32_f16 v125, v3, v7, v125
	;;#ASMEND
	s_wait_dscnt 0x5
	;;#ASMSTART
	v_dot2_f32_f16 v126, v0, v8, v126
	;;#ASMEND
	;;#ASMSTART
	v_dot2_f32_f16 v126, v1, v9, v126
	;;#ASMEND
	;;#ASMSTART
	v_dot2_f32_f16 v126, v2, v10, v126
	;;#ASMEND
	;;#ASMSTART
	v_dot2_f32_f16 v126, v3, v11, v126
	;;#ASMEND
	;; [unrolled: 13-line block ×5, first 2 shown]
	;;#ASMSTART
	v_dot2_f32_f16 v130, v20, v8, v130
	;;#ASMEND
	;;#ASMSTART
	v_dot2_f32_f16 v130, v21, v9, v130
	;;#ASMEND
	;; [unrolled: 3-line block ×12, first 2 shown]
	s_wait_dscnt 0x1
	;;#ASMSTART
	v_dot2_f32_f16 v133, v24, v4, v133
	;;#ASMEND
	;;#ASMSTART
	v_dot2_f32_f16 v133, v25, v5, v133
	;;#ASMEND
	;; [unrolled: 3-line block ×16, first 2 shown]
	s_wait_dscnt 0x0
	;;#ASMSTART
	v_dot2_f32_f16 v137, v142, v4, v137
	;;#ASMEND
	;;#ASMSTART
	v_dot2_f32_f16 v137, v143, v5, v137
	;;#ASMEND
	;;#ASMSTART
	v_dot2_f32_f16 v137, v144, v6, v137
	;;#ASMEND
	;;#ASMSTART
	v_dot2_f32_f16 v137, v145, v7, v137
	;;#ASMEND
	;;#ASMSTART
	v_dot2_f32_f16 v138, v142, v8, v138
	;;#ASMEND
	;;#ASMSTART
	v_dot2_f32_f16 v138, v143, v9, v138
	;;#ASMEND
	;;#ASMSTART
	v_dot2_f32_f16 v138, v144, v10, v138
	;;#ASMEND
	;;#ASMSTART
	v_dot2_f32_f16 v138, v145, v11, v138
	;;#ASMEND
	;;#ASMSTART
	v_dot2_f32_f16 v139, v142, v12, v139
	;;#ASMEND
	;;#ASMSTART
	v_dot2_f32_f16 v139, v143, v13, v139
	;;#ASMEND
	;;#ASMSTART
	v_dot2_f32_f16 v139, v144, v14, v139
	;;#ASMEND
	;;#ASMSTART
	v_dot2_f32_f16 v139, v145, v15, v139
	;;#ASMEND
	;;#ASMSTART
	v_dot2_f32_f16 v140, v142, v16, v140
	;;#ASMEND
	;;#ASMSTART
	v_dot2_f32_f16 v140, v143, v17, v140
	;;#ASMEND
	;;#ASMSTART
	v_dot2_f32_f16 v140, v144, v18, v140
	;;#ASMEND
	;;#ASMSTART
	v_dot2_f32_f16 v140, v145, v19, v140
	;;#ASMEND
	ds_load_b128 v[0:3], v83 offset:112
	ds_load_b128 v[4:7], v72 offset:112
	;; [unrolled: 1-line block ×8, first 2 shown]
	s_wait_dscnt 0x6
	;;#ASMSTART
	v_dot2_f32_f16 v125, v0, v4, v125
	;;#ASMEND
	;;#ASMSTART
	v_dot2_f32_f16 v125, v1, v5, v125
	;;#ASMEND
	;;#ASMSTART
	v_dot2_f32_f16 v125, v2, v6, v125
	;;#ASMEND
	;;#ASMSTART
	v_dot2_f32_f16 v125, v3, v7, v125
	;;#ASMEND
	s_wait_dscnt 0x5
	;;#ASMSTART
	v_dot2_f32_f16 v126, v0, v8, v126
	;;#ASMEND
	;;#ASMSTART
	v_dot2_f32_f16 v126, v1, v9, v126
	;;#ASMEND
	;;#ASMSTART
	v_dot2_f32_f16 v126, v2, v10, v126
	;;#ASMEND
	;;#ASMSTART
	v_dot2_f32_f16 v126, v3, v11, v126
	;;#ASMEND
	;; [unrolled: 13-line block ×5, first 2 shown]
	;;#ASMSTART
	v_dot2_f32_f16 v130, v20, v8, v130
	;;#ASMEND
	;;#ASMSTART
	v_dot2_f32_f16 v130, v21, v9, v130
	;;#ASMEND
	;;#ASMSTART
	v_dot2_f32_f16 v130, v22, v10, v130
	;;#ASMEND
	;;#ASMSTART
	v_dot2_f32_f16 v130, v23, v11, v130
	;;#ASMEND
	;;#ASMSTART
	v_dot2_f32_f16 v131, v20, v12, v131
	;;#ASMEND
	;;#ASMSTART
	v_dot2_f32_f16 v131, v21, v13, v131
	;;#ASMEND
	;;#ASMSTART
	v_dot2_f32_f16 v131, v22, v14, v131
	;;#ASMEND
	;;#ASMSTART
	v_dot2_f32_f16 v131, v23, v15, v131
	;;#ASMEND
	;;#ASMSTART
	v_dot2_f32_f16 v132, v20, v16, v132
	;;#ASMEND
	;;#ASMSTART
	v_dot2_f32_f16 v132, v21, v17, v132
	;;#ASMEND
	;;#ASMSTART
	v_dot2_f32_f16 v132, v22, v18, v132
	;;#ASMEND
	;;#ASMSTART
	v_dot2_f32_f16 v132, v23, v19, v132
	;;#ASMEND
	s_wait_dscnt 0x1
	;;#ASMSTART
	v_dot2_f32_f16 v133, v24, v4, v133
	;;#ASMEND
	;;#ASMSTART
	v_dot2_f32_f16 v133, v25, v5, v133
	;;#ASMEND
	;;#ASMSTART
	v_dot2_f32_f16 v133, v26, v6, v133
	;;#ASMEND
	;;#ASMSTART
	v_dot2_f32_f16 v133, v27, v7, v133
	;;#ASMEND
	;;#ASMSTART
	v_dot2_f32_f16 v134, v24, v8, v134
	;;#ASMEND
	;;#ASMSTART
	v_dot2_f32_f16 v134, v25, v9, v134
	;;#ASMEND
	;;#ASMSTART
	v_dot2_f32_f16 v134, v26, v10, v134
	;;#ASMEND
	;;#ASMSTART
	v_dot2_f32_f16 v134, v27, v11, v134
	;;#ASMEND
	;;#ASMSTART
	v_dot2_f32_f16 v135, v24, v12, v135
	;;#ASMEND
	;;#ASMSTART
	v_dot2_f32_f16 v135, v25, v13, v135
	;;#ASMEND
	;;#ASMSTART
	v_dot2_f32_f16 v135, v26, v14, v135
	;;#ASMEND
	;;#ASMSTART
	v_dot2_f32_f16 v135, v27, v15, v135
	;;#ASMEND
	;;#ASMSTART
	v_dot2_f32_f16 v136, v24, v16, v136
	;;#ASMEND
	;;#ASMSTART
	v_dot2_f32_f16 v136, v25, v17, v136
	;;#ASMEND
	;;#ASMSTART
	v_dot2_f32_f16 v136, v26, v18, v136
	;;#ASMEND
	;;#ASMSTART
	v_dot2_f32_f16 v136, v27, v19, v136
	;;#ASMEND
	s_wait_dscnt 0x0
	;;#ASMSTART
	v_dot2_f32_f16 v137, v142, v4, v137
	;;#ASMEND
	;;#ASMSTART
	v_dot2_f32_f16 v137, v143, v5, v137
	;;#ASMEND
	;; [unrolled: 3-line block ×16, first 2 shown]
	s_barrier_signal -1
	s_barrier_wait -1
	s_clause 0x3
	global_load_b128 v[0:3], v[54:55], off offset:128
	global_load_b128 v[4:7], v[56:57], off offset:128
	;; [unrolled: 1-line block ×4, first 2 shown]
	s_lshl_b64 s[4:5], s[4:5], 2
	s_wait_loadcnt 0x3
	ds_store_b128 v79, v[0:3]
	s_wait_loadcnt 0x2
	ds_store_b128 v80, v[4:7]
	;; [unrolled: 2-line block ×4, first 2 shown]
	s_wait_dscnt 0x0
	s_barrier_signal -1
	s_barrier_wait -1
	ds_load_b128 v[0:3], v83
	ds_load_b128 v[4:7], v72 offset:128
	ds_load_b128 v[8:11], v72 offset:768
	;; [unrolled: 1-line block ×7, first 2 shown]
	s_wait_dscnt 0x6
	;;#ASMSTART
	v_dot2_f32_f16 v125, v0, v4, v125
	;;#ASMEND
	;;#ASMSTART
	v_dot2_f32_f16 v125, v1, v5, v125
	;;#ASMEND
	;;#ASMSTART
	v_dot2_f32_f16 v125, v2, v6, v125
	;;#ASMEND
	;;#ASMSTART
	v_dot2_f32_f16 v125, v3, v7, v125
	;;#ASMEND
	s_wait_dscnt 0x5
	;;#ASMSTART
	v_dot2_f32_f16 v126, v0, v8, v126
	;;#ASMEND
	;;#ASMSTART
	v_dot2_f32_f16 v126, v1, v9, v126
	;;#ASMEND
	;;#ASMSTART
	v_dot2_f32_f16 v126, v2, v10, v126
	;;#ASMEND
	;;#ASMSTART
	v_dot2_f32_f16 v126, v3, v11, v126
	;;#ASMEND
	;; [unrolled: 13-line block ×5, first 2 shown]
	;;#ASMSTART
	v_dot2_f32_f16 v130, v20, v8, v130
	;;#ASMEND
	;;#ASMSTART
	v_dot2_f32_f16 v130, v21, v9, v130
	;;#ASMEND
	;; [unrolled: 3-line block ×12, first 2 shown]
	s_wait_dscnt 0x1
	;;#ASMSTART
	v_dot2_f32_f16 v133, v24, v4, v133
	;;#ASMEND
	;;#ASMSTART
	v_dot2_f32_f16 v133, v25, v5, v133
	;;#ASMEND
	;; [unrolled: 3-line block ×16, first 2 shown]
	s_wait_dscnt 0x0
	;;#ASMSTART
	v_dot2_f32_f16 v137, v142, v4, v137
	;;#ASMEND
	;;#ASMSTART
	v_dot2_f32_f16 v137, v143, v5, v137
	;;#ASMEND
	;; [unrolled: 3-line block ×16, first 2 shown]
	ds_load_b128 v[0:3], v83 offset:16
	ds_load_b128 v[4:7], v72 offset:144
	;; [unrolled: 1-line block ×8, first 2 shown]
	s_wait_dscnt 0x6
	;;#ASMSTART
	v_dot2_f32_f16 v125, v0, v4, v125
	;;#ASMEND
	;;#ASMSTART
	v_dot2_f32_f16 v125, v1, v5, v125
	;;#ASMEND
	;;#ASMSTART
	v_dot2_f32_f16 v125, v2, v6, v125
	;;#ASMEND
	;;#ASMSTART
	v_dot2_f32_f16 v125, v3, v7, v125
	;;#ASMEND
	s_wait_dscnt 0x5
	;;#ASMSTART
	v_dot2_f32_f16 v126, v0, v8, v126
	;;#ASMEND
	;;#ASMSTART
	v_dot2_f32_f16 v126, v1, v9, v126
	;;#ASMEND
	;;#ASMSTART
	v_dot2_f32_f16 v126, v2, v10, v126
	;;#ASMEND
	;;#ASMSTART
	v_dot2_f32_f16 v126, v3, v11, v126
	;;#ASMEND
	;; [unrolled: 13-line block ×5, first 2 shown]
	;;#ASMSTART
	v_dot2_f32_f16 v130, v20, v8, v130
	;;#ASMEND
	;;#ASMSTART
	v_dot2_f32_f16 v130, v21, v9, v130
	;;#ASMEND
	;;#ASMSTART
	v_dot2_f32_f16 v130, v22, v10, v130
	;;#ASMEND
	;;#ASMSTART
	v_dot2_f32_f16 v130, v23, v11, v130
	;;#ASMEND
	;;#ASMSTART
	v_dot2_f32_f16 v131, v20, v12, v131
	;;#ASMEND
	;;#ASMSTART
	v_dot2_f32_f16 v131, v21, v13, v131
	;;#ASMEND
	;;#ASMSTART
	v_dot2_f32_f16 v131, v22, v14, v131
	;;#ASMEND
	;;#ASMSTART
	v_dot2_f32_f16 v131, v23, v15, v131
	;;#ASMEND
	;;#ASMSTART
	v_dot2_f32_f16 v132, v20, v16, v132
	;;#ASMEND
	;;#ASMSTART
	v_dot2_f32_f16 v132, v21, v17, v132
	;;#ASMEND
	;;#ASMSTART
	v_dot2_f32_f16 v132, v22, v18, v132
	;;#ASMEND
	;;#ASMSTART
	v_dot2_f32_f16 v132, v23, v19, v132
	;;#ASMEND
	s_wait_dscnt 0x1
	;;#ASMSTART
	v_dot2_f32_f16 v133, v24, v4, v133
	;;#ASMEND
	;;#ASMSTART
	v_dot2_f32_f16 v133, v25, v5, v133
	;;#ASMEND
	;; [unrolled: 3-line block ×16, first 2 shown]
	s_wait_dscnt 0x0
	;;#ASMSTART
	v_dot2_f32_f16 v137, v142, v4, v137
	;;#ASMEND
	;;#ASMSTART
	v_dot2_f32_f16 v137, v143, v5, v137
	;;#ASMEND
	;; [unrolled: 3-line block ×16, first 2 shown]
	ds_load_b128 v[0:3], v83 offset:32
	ds_load_b128 v[4:7], v72 offset:160
	;; [unrolled: 1-line block ×8, first 2 shown]
	s_wait_dscnt 0x6
	;;#ASMSTART
	v_dot2_f32_f16 v125, v0, v4, v125
	;;#ASMEND
	;;#ASMSTART
	v_dot2_f32_f16 v125, v1, v5, v125
	;;#ASMEND
	;;#ASMSTART
	v_dot2_f32_f16 v125, v2, v6, v125
	;;#ASMEND
	;;#ASMSTART
	v_dot2_f32_f16 v125, v3, v7, v125
	;;#ASMEND
	s_wait_dscnt 0x5
	;;#ASMSTART
	v_dot2_f32_f16 v126, v0, v8, v126
	;;#ASMEND
	;;#ASMSTART
	v_dot2_f32_f16 v126, v1, v9, v126
	;;#ASMEND
	;;#ASMSTART
	v_dot2_f32_f16 v126, v2, v10, v126
	;;#ASMEND
	;;#ASMSTART
	v_dot2_f32_f16 v126, v3, v11, v126
	;;#ASMEND
	;; [unrolled: 13-line block ×5, first 2 shown]
	;;#ASMSTART
	v_dot2_f32_f16 v130, v20, v8, v130
	;;#ASMEND
	;;#ASMSTART
	v_dot2_f32_f16 v130, v21, v9, v130
	;;#ASMEND
	;; [unrolled: 3-line block ×12, first 2 shown]
	s_wait_dscnt 0x1
	;;#ASMSTART
	v_dot2_f32_f16 v133, v24, v4, v133
	;;#ASMEND
	;;#ASMSTART
	v_dot2_f32_f16 v133, v25, v5, v133
	;;#ASMEND
	;; [unrolled: 3-line block ×16, first 2 shown]
	s_wait_dscnt 0x0
	;;#ASMSTART
	v_dot2_f32_f16 v137, v142, v4, v137
	;;#ASMEND
	;;#ASMSTART
	v_dot2_f32_f16 v137, v143, v5, v137
	;;#ASMEND
	;; [unrolled: 3-line block ×16, first 2 shown]
	ds_load_b128 v[0:3], v83 offset:48
	ds_load_b128 v[4:7], v72 offset:176
	;; [unrolled: 1-line block ×8, first 2 shown]
	s_wait_dscnt 0x6
	;;#ASMSTART
	v_dot2_f32_f16 v125, v0, v4, v125
	;;#ASMEND
	;;#ASMSTART
	v_dot2_f32_f16 v125, v1, v5, v125
	;;#ASMEND
	;;#ASMSTART
	v_dot2_f32_f16 v125, v2, v6, v125
	;;#ASMEND
	;;#ASMSTART
	v_dot2_f32_f16 v125, v3, v7, v125
	;;#ASMEND
	s_wait_dscnt 0x5
	;;#ASMSTART
	v_dot2_f32_f16 v126, v0, v8, v126
	;;#ASMEND
	;;#ASMSTART
	v_dot2_f32_f16 v126, v1, v9, v126
	;;#ASMEND
	;;#ASMSTART
	v_dot2_f32_f16 v126, v2, v10, v126
	;;#ASMEND
	;;#ASMSTART
	v_dot2_f32_f16 v126, v3, v11, v126
	;;#ASMEND
	;; [unrolled: 13-line block ×5, first 2 shown]
	;;#ASMSTART
	v_dot2_f32_f16 v130, v20, v8, v130
	;;#ASMEND
	;;#ASMSTART
	v_dot2_f32_f16 v130, v21, v9, v130
	;;#ASMEND
	;; [unrolled: 3-line block ×12, first 2 shown]
	s_wait_dscnt 0x1
	;;#ASMSTART
	v_dot2_f32_f16 v133, v24, v4, v133
	;;#ASMEND
	;;#ASMSTART
	v_dot2_f32_f16 v133, v25, v5, v133
	;;#ASMEND
	;; [unrolled: 3-line block ×16, first 2 shown]
	s_wait_dscnt 0x0
	;;#ASMSTART
	v_dot2_f32_f16 v137, v142, v4, v137
	;;#ASMEND
	;;#ASMSTART
	v_dot2_f32_f16 v137, v143, v5, v137
	;;#ASMEND
	;; [unrolled: 3-line block ×16, first 2 shown]
	ds_load_b128 v[0:3], v83 offset:64
	ds_load_b128 v[4:7], v72 offset:192
	;; [unrolled: 1-line block ×8, first 2 shown]
	s_wait_dscnt 0x6
	;;#ASMSTART
	v_dot2_f32_f16 v125, v0, v4, v125
	;;#ASMEND
	;;#ASMSTART
	v_dot2_f32_f16 v125, v1, v5, v125
	;;#ASMEND
	;;#ASMSTART
	v_dot2_f32_f16 v125, v2, v6, v125
	;;#ASMEND
	;;#ASMSTART
	v_dot2_f32_f16 v125, v3, v7, v125
	;;#ASMEND
	s_wait_dscnt 0x5
	;;#ASMSTART
	v_dot2_f32_f16 v126, v0, v8, v126
	;;#ASMEND
	;;#ASMSTART
	v_dot2_f32_f16 v126, v1, v9, v126
	;;#ASMEND
	;;#ASMSTART
	v_dot2_f32_f16 v126, v2, v10, v126
	;;#ASMEND
	;;#ASMSTART
	v_dot2_f32_f16 v126, v3, v11, v126
	;;#ASMEND
	;; [unrolled: 13-line block ×5, first 2 shown]
	;;#ASMSTART
	v_dot2_f32_f16 v130, v20, v8, v130
	;;#ASMEND
	;;#ASMSTART
	v_dot2_f32_f16 v130, v21, v9, v130
	;;#ASMEND
	;; [unrolled: 3-line block ×12, first 2 shown]
	s_wait_dscnt 0x1
	;;#ASMSTART
	v_dot2_f32_f16 v133, v24, v4, v133
	;;#ASMEND
	;;#ASMSTART
	v_dot2_f32_f16 v133, v25, v5, v133
	;;#ASMEND
	;; [unrolled: 3-line block ×16, first 2 shown]
	s_wait_dscnt 0x0
	;;#ASMSTART
	v_dot2_f32_f16 v137, v142, v4, v137
	;;#ASMEND
	;;#ASMSTART
	v_dot2_f32_f16 v137, v143, v5, v137
	;;#ASMEND
	;; [unrolled: 3-line block ×16, first 2 shown]
	ds_load_b128 v[0:3], v83 offset:80
	ds_load_b128 v[4:7], v72 offset:208
	;; [unrolled: 1-line block ×8, first 2 shown]
	s_wait_dscnt 0x6
	;;#ASMSTART
	v_dot2_f32_f16 v125, v0, v4, v125
	;;#ASMEND
	;;#ASMSTART
	v_dot2_f32_f16 v125, v1, v5, v125
	;;#ASMEND
	;;#ASMSTART
	v_dot2_f32_f16 v125, v2, v6, v125
	;;#ASMEND
	;;#ASMSTART
	v_dot2_f32_f16 v125, v3, v7, v125
	;;#ASMEND
	s_wait_dscnt 0x5
	;;#ASMSTART
	v_dot2_f32_f16 v126, v0, v8, v126
	;;#ASMEND
	;;#ASMSTART
	v_dot2_f32_f16 v126, v1, v9, v126
	;;#ASMEND
	;;#ASMSTART
	v_dot2_f32_f16 v126, v2, v10, v126
	;;#ASMEND
	;;#ASMSTART
	v_dot2_f32_f16 v126, v3, v11, v126
	;;#ASMEND
	;; [unrolled: 13-line block ×5, first 2 shown]
	;;#ASMSTART
	v_dot2_f32_f16 v130, v20, v8, v130
	;;#ASMEND
	;;#ASMSTART
	v_dot2_f32_f16 v130, v21, v9, v130
	;;#ASMEND
	;; [unrolled: 3-line block ×12, first 2 shown]
	s_wait_dscnt 0x1
	;;#ASMSTART
	v_dot2_f32_f16 v133, v24, v4, v133
	;;#ASMEND
	;;#ASMSTART
	v_dot2_f32_f16 v133, v25, v5, v133
	;;#ASMEND
	;; [unrolled: 3-line block ×16, first 2 shown]
	s_wait_dscnt 0x0
	;;#ASMSTART
	v_dot2_f32_f16 v137, v142, v4, v137
	;;#ASMEND
	;;#ASMSTART
	v_dot2_f32_f16 v137, v143, v5, v137
	;;#ASMEND
	;; [unrolled: 3-line block ×16, first 2 shown]
	ds_load_b128 v[0:3], v83 offset:96
	ds_load_b128 v[4:7], v72 offset:224
	;; [unrolled: 1-line block ×8, first 2 shown]
	s_wait_dscnt 0x6
	;;#ASMSTART
	v_dot2_f32_f16 v125, v0, v4, v125
	;;#ASMEND
	;;#ASMSTART
	v_dot2_f32_f16 v125, v1, v5, v125
	;;#ASMEND
	;;#ASMSTART
	v_dot2_f32_f16 v125, v2, v6, v125
	;;#ASMEND
	;;#ASMSTART
	v_dot2_f32_f16 v125, v3, v7, v125
	;;#ASMEND
	s_wait_dscnt 0x5
	;;#ASMSTART
	v_dot2_f32_f16 v126, v0, v8, v126
	;;#ASMEND
	;;#ASMSTART
	v_dot2_f32_f16 v126, v1, v9, v126
	;;#ASMEND
	;;#ASMSTART
	v_dot2_f32_f16 v126, v2, v10, v126
	;;#ASMEND
	;;#ASMSTART
	v_dot2_f32_f16 v126, v3, v11, v126
	;;#ASMEND
	;; [unrolled: 13-line block ×5, first 2 shown]
	;;#ASMSTART
	v_dot2_f32_f16 v130, v20, v8, v130
	;;#ASMEND
	;;#ASMSTART
	v_dot2_f32_f16 v130, v21, v9, v130
	;;#ASMEND
	;; [unrolled: 3-line block ×12, first 2 shown]
	s_wait_dscnt 0x1
	;;#ASMSTART
	v_dot2_f32_f16 v133, v24, v4, v133
	;;#ASMEND
	;;#ASMSTART
	v_dot2_f32_f16 v133, v25, v5, v133
	;;#ASMEND
	;; [unrolled: 3-line block ×16, first 2 shown]
	s_wait_dscnt 0x0
	;;#ASMSTART
	v_dot2_f32_f16 v137, v142, v4, v137
	;;#ASMEND
	;;#ASMSTART
	v_dot2_f32_f16 v137, v143, v5, v137
	;;#ASMEND
	;; [unrolled: 3-line block ×16, first 2 shown]
	ds_load_b128 v[0:3], v83 offset:112
	ds_load_b128 v[4:7], v72 offset:240
	;; [unrolled: 1-line block ×8, first 2 shown]
	s_wait_dscnt 0x6
	;;#ASMSTART
	v_dot2_f32_f16 v125, v0, v4, v125
	;;#ASMEND
	;;#ASMSTART
	v_dot2_f32_f16 v125, v1, v5, v125
	;;#ASMEND
	;;#ASMSTART
	v_dot2_f32_f16 v125, v2, v6, v125
	;;#ASMEND
	;;#ASMSTART
	v_dot2_f32_f16 v125, v3, v7, v125
	;;#ASMEND
	s_wait_dscnt 0x5
	;;#ASMSTART
	v_dot2_f32_f16 v126, v0, v8, v126
	;;#ASMEND
	;;#ASMSTART
	v_dot2_f32_f16 v126, v1, v9, v126
	;;#ASMEND
	;;#ASMSTART
	v_dot2_f32_f16 v126, v2, v10, v126
	;;#ASMEND
	;;#ASMSTART
	v_dot2_f32_f16 v126, v3, v11, v126
	;;#ASMEND
	;; [unrolled: 13-line block ×5, first 2 shown]
	;;#ASMSTART
	v_dot2_f32_f16 v130, v20, v8, v130
	;;#ASMEND
	;;#ASMSTART
	v_dot2_f32_f16 v130, v21, v9, v130
	;;#ASMEND
	;; [unrolled: 3-line block ×12, first 2 shown]
	s_wait_dscnt 0x1
	;;#ASMSTART
	v_dot2_f32_f16 v133, v24, v4, v133
	;;#ASMEND
	;;#ASMSTART
	v_dot2_f32_f16 v133, v25, v5, v133
	;;#ASMEND
	;; [unrolled: 3-line block ×16, first 2 shown]
	s_wait_dscnt 0x0
	;;#ASMSTART
	v_dot2_f32_f16 v137, v142, v4, v137
	;;#ASMEND
	;;#ASMSTART
	v_dot2_f32_f16 v137, v143, v5, v137
	;;#ASMEND
	;;#ASMSTART
	v_dot2_f32_f16 v137, v144, v6, v137
	;;#ASMEND
	;;#ASMSTART
	v_dot2_f32_f16 v137, v145, v7, v137
	;;#ASMEND
	;;#ASMSTART
	v_dot2_f32_f16 v138, v142, v8, v138
	;;#ASMEND
	;;#ASMSTART
	v_dot2_f32_f16 v138, v143, v9, v138
	;;#ASMEND
	;;#ASMSTART
	v_dot2_f32_f16 v138, v144, v10, v138
	;;#ASMEND
	;;#ASMSTART
	v_dot2_f32_f16 v138, v145, v11, v138
	;;#ASMEND
	;;#ASMSTART
	v_dot2_f32_f16 v139, v142, v12, v139
	;;#ASMEND
	;;#ASMSTART
	v_dot2_f32_f16 v139, v143, v13, v139
	;;#ASMEND
	;;#ASMSTART
	v_dot2_f32_f16 v139, v144, v14, v139
	;;#ASMEND
	;;#ASMSTART
	v_dot2_f32_f16 v139, v145, v15, v139
	;;#ASMEND
	;;#ASMSTART
	v_dot2_f32_f16 v140, v142, v16, v140
	;;#ASMEND
	;;#ASMSTART
	v_dot2_f32_f16 v140, v143, v17, v140
	;;#ASMEND
	;;#ASMSTART
	v_dot2_f32_f16 v140, v144, v18, v140
	;;#ASMEND
	;;#ASMSTART
	v_dot2_f32_f16 v140, v145, v19, v140
	;;#ASMEND
	s_barrier_signal -1
	s_barrier_wait -1
	s_clause 0x3
	global_load_b128 v[0:3], v[54:55], off offset:256
	global_load_b128 v[4:7], v[56:57], off offset:256
	;; [unrolled: 1-line block ×4, first 2 shown]
	s_add_nc_u64 s[2:3], s[46:47], s[4:5]
	s_wait_loadcnt 0x3
	ds_store_b128 v79, v[0:3]
	s_wait_loadcnt 0x2
	ds_store_b128 v80, v[4:7]
	;; [unrolled: 2-line block ×4, first 2 shown]
	s_wait_dscnt 0x0
	s_barrier_signal -1
	s_barrier_wait -1
	ds_load_b128 v[0:3], v83
	ds_load_b128 v[4:7], v72 offset:256
	ds_load_b128 v[8:11], v72 offset:896
	;; [unrolled: 1-line block ×7, first 2 shown]
	s_wait_dscnt 0x6
	;;#ASMSTART
	v_dot2_f32_f16 v125, v0, v4, v125
	;;#ASMEND
	;;#ASMSTART
	v_dot2_f32_f16 v125, v1, v5, v125
	;;#ASMEND
	;;#ASMSTART
	v_dot2_f32_f16 v125, v2, v6, v125
	;;#ASMEND
	;;#ASMSTART
	v_dot2_f32_f16 v125, v3, v7, v125
	;;#ASMEND
	s_wait_dscnt 0x5
	;;#ASMSTART
	v_dot2_f32_f16 v126, v0, v8, v126
	;;#ASMEND
	;;#ASMSTART
	v_dot2_f32_f16 v126, v1, v9, v126
	;;#ASMEND
	;;#ASMSTART
	v_dot2_f32_f16 v126, v2, v10, v126
	;;#ASMEND
	;;#ASMSTART
	v_dot2_f32_f16 v126, v3, v11, v126
	;;#ASMEND
	;; [unrolled: 13-line block ×5, first 2 shown]
	;;#ASMSTART
	v_dot2_f32_f16 v130, v20, v8, v130
	;;#ASMEND
	;;#ASMSTART
	v_dot2_f32_f16 v130, v21, v9, v130
	;;#ASMEND
	;; [unrolled: 3-line block ×12, first 2 shown]
	s_wait_dscnt 0x1
	;;#ASMSTART
	v_dot2_f32_f16 v133, v24, v4, v133
	;;#ASMEND
	;;#ASMSTART
	v_dot2_f32_f16 v133, v25, v5, v133
	;;#ASMEND
	;; [unrolled: 3-line block ×16, first 2 shown]
	s_wait_dscnt 0x0
	;;#ASMSTART
	v_dot2_f32_f16 v137, v142, v4, v137
	;;#ASMEND
	;;#ASMSTART
	v_dot2_f32_f16 v137, v143, v5, v137
	;;#ASMEND
	;; [unrolled: 3-line block ×16, first 2 shown]
	ds_load_b128 v[0:3], v83 offset:16
	ds_load_b128 v[4:7], v72 offset:272
	;; [unrolled: 1-line block ×8, first 2 shown]
	s_wait_dscnt 0x6
	;;#ASMSTART
	v_dot2_f32_f16 v125, v0, v4, v125
	;;#ASMEND
	;;#ASMSTART
	v_dot2_f32_f16 v125, v1, v5, v125
	;;#ASMEND
	;;#ASMSTART
	v_dot2_f32_f16 v125, v2, v6, v125
	;;#ASMEND
	;;#ASMSTART
	v_dot2_f32_f16 v125, v3, v7, v125
	;;#ASMEND
	s_wait_dscnt 0x5
	;;#ASMSTART
	v_dot2_f32_f16 v126, v0, v8, v126
	;;#ASMEND
	;;#ASMSTART
	v_dot2_f32_f16 v126, v1, v9, v126
	;;#ASMEND
	;;#ASMSTART
	v_dot2_f32_f16 v126, v2, v10, v126
	;;#ASMEND
	;;#ASMSTART
	v_dot2_f32_f16 v126, v3, v11, v126
	;;#ASMEND
	;; [unrolled: 13-line block ×5, first 2 shown]
	;;#ASMSTART
	v_dot2_f32_f16 v130, v20, v8, v130
	;;#ASMEND
	;;#ASMSTART
	v_dot2_f32_f16 v130, v21, v9, v130
	;;#ASMEND
	;; [unrolled: 3-line block ×12, first 2 shown]
	s_wait_dscnt 0x1
	;;#ASMSTART
	v_dot2_f32_f16 v133, v24, v4, v133
	;;#ASMEND
	;;#ASMSTART
	v_dot2_f32_f16 v133, v25, v5, v133
	;;#ASMEND
	;; [unrolled: 3-line block ×16, first 2 shown]
	s_wait_dscnt 0x0
	;;#ASMSTART
	v_dot2_f32_f16 v137, v142, v4, v137
	;;#ASMEND
	;;#ASMSTART
	v_dot2_f32_f16 v137, v143, v5, v137
	;;#ASMEND
	;; [unrolled: 3-line block ×16, first 2 shown]
	ds_load_b128 v[0:3], v83 offset:32
	ds_load_b128 v[4:7], v72 offset:288
	;; [unrolled: 1-line block ×8, first 2 shown]
	s_wait_dscnt 0x6
	;;#ASMSTART
	v_dot2_f32_f16 v125, v0, v4, v125
	;;#ASMEND
	;;#ASMSTART
	v_dot2_f32_f16 v125, v1, v5, v125
	;;#ASMEND
	;;#ASMSTART
	v_dot2_f32_f16 v125, v2, v6, v125
	;;#ASMEND
	;;#ASMSTART
	v_dot2_f32_f16 v125, v3, v7, v125
	;;#ASMEND
	s_wait_dscnt 0x5
	;;#ASMSTART
	v_dot2_f32_f16 v126, v0, v8, v126
	;;#ASMEND
	;;#ASMSTART
	v_dot2_f32_f16 v126, v1, v9, v126
	;;#ASMEND
	;;#ASMSTART
	v_dot2_f32_f16 v126, v2, v10, v126
	;;#ASMEND
	;;#ASMSTART
	v_dot2_f32_f16 v126, v3, v11, v126
	;;#ASMEND
	;; [unrolled: 13-line block ×5, first 2 shown]
	;;#ASMSTART
	v_dot2_f32_f16 v130, v20, v8, v130
	;;#ASMEND
	;;#ASMSTART
	v_dot2_f32_f16 v130, v21, v9, v130
	;;#ASMEND
	;; [unrolled: 3-line block ×12, first 2 shown]
	s_wait_dscnt 0x1
	;;#ASMSTART
	v_dot2_f32_f16 v133, v24, v4, v133
	;;#ASMEND
	;;#ASMSTART
	v_dot2_f32_f16 v133, v25, v5, v133
	;;#ASMEND
	;; [unrolled: 3-line block ×16, first 2 shown]
	s_wait_dscnt 0x0
	;;#ASMSTART
	v_dot2_f32_f16 v137, v142, v4, v137
	;;#ASMEND
	;;#ASMSTART
	v_dot2_f32_f16 v137, v143, v5, v137
	;;#ASMEND
	;; [unrolled: 3-line block ×16, first 2 shown]
	ds_load_b128 v[0:3], v83 offset:48
	ds_load_b128 v[4:7], v72 offset:304
	;; [unrolled: 1-line block ×8, first 2 shown]
	s_wait_dscnt 0x6
	;;#ASMSTART
	v_dot2_f32_f16 v125, v0, v4, v125
	;;#ASMEND
	;;#ASMSTART
	v_dot2_f32_f16 v125, v1, v5, v125
	;;#ASMEND
	;;#ASMSTART
	v_dot2_f32_f16 v125, v2, v6, v125
	;;#ASMEND
	;;#ASMSTART
	v_dot2_f32_f16 v125, v3, v7, v125
	;;#ASMEND
	s_wait_dscnt 0x5
	;;#ASMSTART
	v_dot2_f32_f16 v126, v0, v8, v126
	;;#ASMEND
	;;#ASMSTART
	v_dot2_f32_f16 v126, v1, v9, v126
	;;#ASMEND
	;;#ASMSTART
	v_dot2_f32_f16 v126, v2, v10, v126
	;;#ASMEND
	;;#ASMSTART
	v_dot2_f32_f16 v126, v3, v11, v126
	;;#ASMEND
	s_wait_dscnt 0x4
	;;#ASMSTART
	v_dot2_f32_f16 v127, v0, v12, v127
	;;#ASMEND
	;;#ASMSTART
	v_dot2_f32_f16 v127, v1, v13, v127
	;;#ASMEND
	;;#ASMSTART
	v_dot2_f32_f16 v127, v2, v14, v127
	;;#ASMEND
	;;#ASMSTART
	v_dot2_f32_f16 v127, v3, v15, v127
	;;#ASMEND
	s_wait_dscnt 0x3
	;;#ASMSTART
	v_dot2_f32_f16 v128, v0, v16, v128
	;;#ASMEND
	;;#ASMSTART
	v_dot2_f32_f16 v128, v1, v17, v128
	;;#ASMEND
	;;#ASMSTART
	v_dot2_f32_f16 v128, v2, v18, v128
	;;#ASMEND
	;;#ASMSTART
	v_dot2_f32_f16 v128, v3, v19, v128
	;;#ASMEND
	s_wait_dscnt 0x2
	;;#ASMSTART
	v_dot2_f32_f16 v129, v20, v4, v129
	;;#ASMEND
	;;#ASMSTART
	v_dot2_f32_f16 v129, v21, v5, v129
	;;#ASMEND
	;;#ASMSTART
	v_dot2_f32_f16 v129, v22, v6, v129
	;;#ASMEND
	;;#ASMSTART
	v_dot2_f32_f16 v129, v23, v7, v129
	;;#ASMEND
	;;#ASMSTART
	v_dot2_f32_f16 v130, v20, v8, v130
	;;#ASMEND
	;;#ASMSTART
	v_dot2_f32_f16 v130, v21, v9, v130
	;;#ASMEND
	;; [unrolled: 3-line block ×12, first 2 shown]
	s_wait_dscnt 0x1
	;;#ASMSTART
	v_dot2_f32_f16 v133, v24, v4, v133
	;;#ASMEND
	;;#ASMSTART
	v_dot2_f32_f16 v133, v25, v5, v133
	;;#ASMEND
	;; [unrolled: 3-line block ×16, first 2 shown]
	s_wait_dscnt 0x0
	;;#ASMSTART
	v_dot2_f32_f16 v137, v142, v4, v137
	;;#ASMEND
	;;#ASMSTART
	v_dot2_f32_f16 v137, v143, v5, v137
	;;#ASMEND
	;; [unrolled: 3-line block ×16, first 2 shown]
	ds_load_b128 v[0:3], v83 offset:64
	ds_load_b128 v[4:7], v72 offset:320
	ds_load_b128 v[8:11], v72 offset:960
	ds_load_b128 v[12:15], v72 offset:1600
	ds_load_b128 v[16:19], v72 offset:2240
	ds_load_b128 v[20:23], v83 offset:4672
	ds_load_b128 v[24:27], v83 offset:9280
	ds_load_b128 v[142:145], v83 offset:13888
	s_wait_dscnt 0x6
	;;#ASMSTART
	v_dot2_f32_f16 v125, v0, v4, v125
	;;#ASMEND
	;;#ASMSTART
	v_dot2_f32_f16 v125, v1, v5, v125
	;;#ASMEND
	;;#ASMSTART
	v_dot2_f32_f16 v125, v2, v6, v125
	;;#ASMEND
	;;#ASMSTART
	v_dot2_f32_f16 v125, v3, v7, v125
	;;#ASMEND
	s_wait_dscnt 0x5
	;;#ASMSTART
	v_dot2_f32_f16 v126, v0, v8, v126
	;;#ASMEND
	;;#ASMSTART
	v_dot2_f32_f16 v126, v1, v9, v126
	;;#ASMEND
	;;#ASMSTART
	v_dot2_f32_f16 v126, v2, v10, v126
	;;#ASMEND
	;;#ASMSTART
	v_dot2_f32_f16 v126, v3, v11, v126
	;;#ASMEND
	;; [unrolled: 13-line block ×5, first 2 shown]
	;;#ASMSTART
	v_dot2_f32_f16 v130, v20, v8, v130
	;;#ASMEND
	;;#ASMSTART
	v_dot2_f32_f16 v130, v21, v9, v130
	;;#ASMEND
	;; [unrolled: 3-line block ×12, first 2 shown]
	s_wait_dscnt 0x1
	;;#ASMSTART
	v_dot2_f32_f16 v133, v24, v4, v133
	;;#ASMEND
	;;#ASMSTART
	v_dot2_f32_f16 v133, v25, v5, v133
	;;#ASMEND
	;; [unrolled: 3-line block ×16, first 2 shown]
	s_wait_dscnt 0x0
	;;#ASMSTART
	v_dot2_f32_f16 v137, v142, v4, v137
	;;#ASMEND
	;;#ASMSTART
	v_dot2_f32_f16 v137, v143, v5, v137
	;;#ASMEND
	;;#ASMSTART
	v_dot2_f32_f16 v137, v144, v6, v137
	;;#ASMEND
	;;#ASMSTART
	v_dot2_f32_f16 v137, v145, v7, v137
	;;#ASMEND
	;;#ASMSTART
	v_dot2_f32_f16 v138, v142, v8, v138
	;;#ASMEND
	;;#ASMSTART
	v_dot2_f32_f16 v138, v143, v9, v138
	;;#ASMEND
	;;#ASMSTART
	v_dot2_f32_f16 v138, v144, v10, v138
	;;#ASMEND
	;;#ASMSTART
	v_dot2_f32_f16 v138, v145, v11, v138
	;;#ASMEND
	;;#ASMSTART
	v_dot2_f32_f16 v139, v142, v12, v139
	;;#ASMEND
	;;#ASMSTART
	v_dot2_f32_f16 v139, v143, v13, v139
	;;#ASMEND
	;;#ASMSTART
	v_dot2_f32_f16 v139, v144, v14, v139
	;;#ASMEND
	;;#ASMSTART
	v_dot2_f32_f16 v139, v145, v15, v139
	;;#ASMEND
	;;#ASMSTART
	v_dot2_f32_f16 v140, v142, v16, v140
	;;#ASMEND
	;;#ASMSTART
	v_dot2_f32_f16 v140, v143, v17, v140
	;;#ASMEND
	;;#ASMSTART
	v_dot2_f32_f16 v140, v144, v18, v140
	;;#ASMEND
	;;#ASMSTART
	v_dot2_f32_f16 v140, v145, v19, v140
	;;#ASMEND
	ds_load_b128 v[0:3], v83 offset:80
	ds_load_b128 v[4:7], v72 offset:336
	;; [unrolled: 1-line block ×8, first 2 shown]
	s_wait_dscnt 0x6
	;;#ASMSTART
	v_dot2_f32_f16 v125, v0, v4, v125
	;;#ASMEND
	;;#ASMSTART
	v_dot2_f32_f16 v125, v1, v5, v125
	;;#ASMEND
	;;#ASMSTART
	v_dot2_f32_f16 v125, v2, v6, v125
	;;#ASMEND
	;;#ASMSTART
	v_dot2_f32_f16 v125, v3, v7, v125
	;;#ASMEND
	s_wait_dscnt 0x5
	;;#ASMSTART
	v_dot2_f32_f16 v126, v0, v8, v126
	;;#ASMEND
	;;#ASMSTART
	v_dot2_f32_f16 v126, v1, v9, v126
	;;#ASMEND
	;;#ASMSTART
	v_dot2_f32_f16 v126, v2, v10, v126
	;;#ASMEND
	;;#ASMSTART
	v_dot2_f32_f16 v126, v3, v11, v126
	;;#ASMEND
	;; [unrolled: 13-line block ×5, first 2 shown]
	;;#ASMSTART
	v_dot2_f32_f16 v130, v20, v8, v130
	;;#ASMEND
	;;#ASMSTART
	v_dot2_f32_f16 v130, v21, v9, v130
	;;#ASMEND
	;; [unrolled: 3-line block ×12, first 2 shown]
	s_wait_dscnt 0x1
	;;#ASMSTART
	v_dot2_f32_f16 v133, v24, v4, v133
	;;#ASMEND
	;;#ASMSTART
	v_dot2_f32_f16 v133, v25, v5, v133
	;;#ASMEND
	;;#ASMSTART
	v_dot2_f32_f16 v133, v26, v6, v133
	;;#ASMEND
	;;#ASMSTART
	v_dot2_f32_f16 v133, v27, v7, v133
	;;#ASMEND
	;;#ASMSTART
	v_dot2_f32_f16 v134, v24, v8, v134
	;;#ASMEND
	;;#ASMSTART
	v_dot2_f32_f16 v134, v25, v9, v134
	;;#ASMEND
	;;#ASMSTART
	v_dot2_f32_f16 v134, v26, v10, v134
	;;#ASMEND
	;;#ASMSTART
	v_dot2_f32_f16 v134, v27, v11, v134
	;;#ASMEND
	;;#ASMSTART
	v_dot2_f32_f16 v135, v24, v12, v135
	;;#ASMEND
	;;#ASMSTART
	v_dot2_f32_f16 v135, v25, v13, v135
	;;#ASMEND
	;;#ASMSTART
	v_dot2_f32_f16 v135, v26, v14, v135
	;;#ASMEND
	;;#ASMSTART
	v_dot2_f32_f16 v135, v27, v15, v135
	;;#ASMEND
	;;#ASMSTART
	v_dot2_f32_f16 v136, v24, v16, v136
	;;#ASMEND
	;;#ASMSTART
	v_dot2_f32_f16 v136, v25, v17, v136
	;;#ASMEND
	;;#ASMSTART
	v_dot2_f32_f16 v136, v26, v18, v136
	;;#ASMEND
	;;#ASMSTART
	v_dot2_f32_f16 v136, v27, v19, v136
	;;#ASMEND
	s_wait_dscnt 0x0
	;;#ASMSTART
	v_dot2_f32_f16 v137, v142, v4, v137
	;;#ASMEND
	;;#ASMSTART
	v_dot2_f32_f16 v137, v143, v5, v137
	;;#ASMEND
	;; [unrolled: 3-line block ×16, first 2 shown]
	ds_load_b128 v[0:3], v83 offset:96
	ds_load_b128 v[4:7], v72 offset:352
	;; [unrolled: 1-line block ×8, first 2 shown]
	s_wait_dscnt 0x6
	;;#ASMSTART
	v_dot2_f32_f16 v125, v0, v4, v125
	;;#ASMEND
	;;#ASMSTART
	v_dot2_f32_f16 v125, v1, v5, v125
	;;#ASMEND
	;;#ASMSTART
	v_dot2_f32_f16 v125, v2, v6, v125
	;;#ASMEND
	;;#ASMSTART
	v_dot2_f32_f16 v125, v3, v7, v125
	;;#ASMEND
	s_wait_dscnt 0x5
	;;#ASMSTART
	v_dot2_f32_f16 v126, v0, v8, v126
	;;#ASMEND
	;;#ASMSTART
	v_dot2_f32_f16 v126, v1, v9, v126
	;;#ASMEND
	;;#ASMSTART
	v_dot2_f32_f16 v126, v2, v10, v126
	;;#ASMEND
	;;#ASMSTART
	v_dot2_f32_f16 v126, v3, v11, v126
	;;#ASMEND
	;; [unrolled: 13-line block ×5, first 2 shown]
	;;#ASMSTART
	v_dot2_f32_f16 v130, v20, v8, v130
	;;#ASMEND
	;;#ASMSTART
	v_dot2_f32_f16 v130, v21, v9, v130
	;;#ASMEND
	;; [unrolled: 3-line block ×12, first 2 shown]
	s_wait_dscnt 0x1
	;;#ASMSTART
	v_dot2_f32_f16 v133, v24, v4, v133
	;;#ASMEND
	;;#ASMSTART
	v_dot2_f32_f16 v133, v25, v5, v133
	;;#ASMEND
	;; [unrolled: 3-line block ×16, first 2 shown]
	s_wait_dscnt 0x0
	;;#ASMSTART
	v_dot2_f32_f16 v137, v142, v4, v137
	;;#ASMEND
	;;#ASMSTART
	v_dot2_f32_f16 v137, v143, v5, v137
	;;#ASMEND
	;; [unrolled: 3-line block ×16, first 2 shown]
	ds_load_b128 v[0:3], v83 offset:112
	ds_load_b128 v[4:7], v72 offset:368
	;; [unrolled: 1-line block ×8, first 2 shown]
	s_wait_dscnt 0x6
	;;#ASMSTART
	v_dot2_f32_f16 v125, v0, v4, v125
	;;#ASMEND
	;;#ASMSTART
	v_dot2_f32_f16 v125, v1, v5, v125
	;;#ASMEND
	;;#ASMSTART
	v_dot2_f32_f16 v125, v2, v6, v125
	;;#ASMEND
	;;#ASMSTART
	v_dot2_f32_f16 v125, v3, v7, v125
	;;#ASMEND
	s_wait_dscnt 0x5
	;;#ASMSTART
	v_dot2_f32_f16 v126, v0, v8, v126
	;;#ASMEND
	;;#ASMSTART
	v_dot2_f32_f16 v126, v1, v9, v126
	;;#ASMEND
	;;#ASMSTART
	v_dot2_f32_f16 v126, v2, v10, v126
	;;#ASMEND
	;;#ASMSTART
	v_dot2_f32_f16 v126, v3, v11, v126
	;;#ASMEND
	;; [unrolled: 13-line block ×5, first 2 shown]
	;;#ASMSTART
	v_dot2_f32_f16 v130, v20, v8, v130
	;;#ASMEND
	;;#ASMSTART
	v_dot2_f32_f16 v130, v21, v9, v130
	;;#ASMEND
	;; [unrolled: 3-line block ×12, first 2 shown]
	s_wait_dscnt 0x1
	;;#ASMSTART
	v_dot2_f32_f16 v133, v24, v4, v133
	;;#ASMEND
	;;#ASMSTART
	v_dot2_f32_f16 v133, v25, v5, v133
	;;#ASMEND
	;; [unrolled: 3-line block ×16, first 2 shown]
	s_wait_dscnt 0x0
	;;#ASMSTART
	v_dot2_f32_f16 v137, v142, v4, v137
	;;#ASMEND
	;;#ASMSTART
	v_dot2_f32_f16 v137, v143, v5, v137
	;;#ASMEND
	;; [unrolled: 3-line block ×16, first 2 shown]
	s_barrier_signal -1
	s_barrier_wait -1
	s_clause 0x3
	global_load_b128 v[0:3], v[54:55], off offset:384
	global_load_b128 v[4:7], v[56:57], off offset:384
	;; [unrolled: 1-line block ×4, first 2 shown]
	s_wait_loadcnt 0x3
	ds_store_b128 v79, v[0:3]
	s_wait_loadcnt 0x2
	ds_store_b128 v80, v[4:7]
	;; [unrolled: 2-line block ×4, first 2 shown]
	s_wait_dscnt 0x0
	s_barrier_signal -1
	s_barrier_wait -1
	ds_load_b128 v[0:3], v83
	ds_load_b128 v[4:7], v72 offset:384
	ds_load_b128 v[8:11], v72 offset:1024
	ds_load_b128 v[12:15], v72 offset:1664
	ds_load_b128 v[16:19], v72 offset:2304
	ds_load_b128 v[20:23], v83 offset:4608
	ds_load_b128 v[24:27], v83 offset:9216
	ds_load_b128 v[142:145], v83 offset:13824
	s_wait_dscnt 0x6
	;;#ASMSTART
	v_dot2_f32_f16 v125, v0, v4, v125
	;;#ASMEND
	;;#ASMSTART
	v_dot2_f32_f16 v125, v1, v5, v125
	;;#ASMEND
	;;#ASMSTART
	v_dot2_f32_f16 v125, v2, v6, v125
	;;#ASMEND
	;;#ASMSTART
	v_dot2_f32_f16 v125, v3, v7, v125
	;;#ASMEND
	s_wait_dscnt 0x5
	;;#ASMSTART
	v_dot2_f32_f16 v126, v0, v8, v126
	;;#ASMEND
	;;#ASMSTART
	v_dot2_f32_f16 v126, v1, v9, v126
	;;#ASMEND
	;;#ASMSTART
	v_dot2_f32_f16 v126, v2, v10, v126
	;;#ASMEND
	;;#ASMSTART
	v_dot2_f32_f16 v126, v3, v11, v126
	;;#ASMEND
	;; [unrolled: 13-line block ×5, first 2 shown]
	;;#ASMSTART
	v_dot2_f32_f16 v130, v20, v8, v130
	;;#ASMEND
	;;#ASMSTART
	v_dot2_f32_f16 v130, v21, v9, v130
	;;#ASMEND
	;; [unrolled: 3-line block ×12, first 2 shown]
	s_wait_dscnt 0x1
	;;#ASMSTART
	v_dot2_f32_f16 v133, v24, v4, v133
	;;#ASMEND
	;;#ASMSTART
	v_dot2_f32_f16 v133, v25, v5, v133
	;;#ASMEND
	;; [unrolled: 3-line block ×16, first 2 shown]
	s_wait_dscnt 0x0
	;;#ASMSTART
	v_dot2_f32_f16 v137, v142, v4, v137
	;;#ASMEND
	;;#ASMSTART
	v_dot2_f32_f16 v137, v143, v5, v137
	;;#ASMEND
	;; [unrolled: 3-line block ×16, first 2 shown]
	ds_load_b128 v[0:3], v83 offset:16
	ds_load_b128 v[4:7], v72 offset:400
	;; [unrolled: 1-line block ×8, first 2 shown]
	s_wait_dscnt 0x6
	;;#ASMSTART
	v_dot2_f32_f16 v125, v0, v4, v125
	;;#ASMEND
	;;#ASMSTART
	v_dot2_f32_f16 v125, v1, v5, v125
	;;#ASMEND
	;;#ASMSTART
	v_dot2_f32_f16 v125, v2, v6, v125
	;;#ASMEND
	;;#ASMSTART
	v_dot2_f32_f16 v125, v3, v7, v125
	;;#ASMEND
	s_wait_dscnt 0x5
	;;#ASMSTART
	v_dot2_f32_f16 v126, v0, v8, v126
	;;#ASMEND
	;;#ASMSTART
	v_dot2_f32_f16 v126, v1, v9, v126
	;;#ASMEND
	;;#ASMSTART
	v_dot2_f32_f16 v126, v2, v10, v126
	;;#ASMEND
	;;#ASMSTART
	v_dot2_f32_f16 v126, v3, v11, v126
	;;#ASMEND
	;; [unrolled: 13-line block ×5, first 2 shown]
	;;#ASMSTART
	v_dot2_f32_f16 v130, v20, v8, v130
	;;#ASMEND
	;;#ASMSTART
	v_dot2_f32_f16 v130, v21, v9, v130
	;;#ASMEND
	;; [unrolled: 3-line block ×12, first 2 shown]
	s_wait_dscnt 0x1
	;;#ASMSTART
	v_dot2_f32_f16 v133, v24, v4, v133
	;;#ASMEND
	;;#ASMSTART
	v_dot2_f32_f16 v133, v25, v5, v133
	;;#ASMEND
	;; [unrolled: 3-line block ×16, first 2 shown]
	s_wait_dscnt 0x0
	;;#ASMSTART
	v_dot2_f32_f16 v137, v142, v4, v137
	;;#ASMEND
	;;#ASMSTART
	v_dot2_f32_f16 v137, v143, v5, v137
	;;#ASMEND
	;; [unrolled: 3-line block ×16, first 2 shown]
	ds_load_b128 v[0:3], v83 offset:32
	ds_load_b128 v[4:7], v72 offset:416
	;; [unrolled: 1-line block ×8, first 2 shown]
	s_wait_dscnt 0x6
	;;#ASMSTART
	v_dot2_f32_f16 v125, v0, v4, v125
	;;#ASMEND
	;;#ASMSTART
	v_dot2_f32_f16 v125, v1, v5, v125
	;;#ASMEND
	;;#ASMSTART
	v_dot2_f32_f16 v125, v2, v6, v125
	;;#ASMEND
	;;#ASMSTART
	v_dot2_f32_f16 v125, v3, v7, v125
	;;#ASMEND
	s_wait_dscnt 0x5
	;;#ASMSTART
	v_dot2_f32_f16 v126, v0, v8, v126
	;;#ASMEND
	;;#ASMSTART
	v_dot2_f32_f16 v126, v1, v9, v126
	;;#ASMEND
	;;#ASMSTART
	v_dot2_f32_f16 v126, v2, v10, v126
	;;#ASMEND
	;;#ASMSTART
	v_dot2_f32_f16 v126, v3, v11, v126
	;;#ASMEND
	;; [unrolled: 13-line block ×5, first 2 shown]
	;;#ASMSTART
	v_dot2_f32_f16 v130, v20, v8, v130
	;;#ASMEND
	;;#ASMSTART
	v_dot2_f32_f16 v130, v21, v9, v130
	;;#ASMEND
	;; [unrolled: 3-line block ×12, first 2 shown]
	s_wait_dscnt 0x1
	;;#ASMSTART
	v_dot2_f32_f16 v133, v24, v4, v133
	;;#ASMEND
	;;#ASMSTART
	v_dot2_f32_f16 v133, v25, v5, v133
	;;#ASMEND
	;; [unrolled: 3-line block ×16, first 2 shown]
	s_wait_dscnt 0x0
	;;#ASMSTART
	v_dot2_f32_f16 v137, v142, v4, v137
	;;#ASMEND
	;;#ASMSTART
	v_dot2_f32_f16 v137, v143, v5, v137
	;;#ASMEND
	;; [unrolled: 3-line block ×16, first 2 shown]
	ds_load_b128 v[0:3], v83 offset:48
	ds_load_b128 v[4:7], v72 offset:432
	;; [unrolled: 1-line block ×8, first 2 shown]
	s_wait_dscnt 0x6
	;;#ASMSTART
	v_dot2_f32_f16 v125, v0, v4, v125
	;;#ASMEND
	;;#ASMSTART
	v_dot2_f32_f16 v125, v1, v5, v125
	;;#ASMEND
	;;#ASMSTART
	v_dot2_f32_f16 v125, v2, v6, v125
	;;#ASMEND
	;;#ASMSTART
	v_dot2_f32_f16 v125, v3, v7, v125
	;;#ASMEND
	s_wait_dscnt 0x5
	;;#ASMSTART
	v_dot2_f32_f16 v126, v0, v8, v126
	;;#ASMEND
	;;#ASMSTART
	v_dot2_f32_f16 v126, v1, v9, v126
	;;#ASMEND
	;;#ASMSTART
	v_dot2_f32_f16 v126, v2, v10, v126
	;;#ASMEND
	;;#ASMSTART
	v_dot2_f32_f16 v126, v3, v11, v126
	;;#ASMEND
	;; [unrolled: 13-line block ×5, first 2 shown]
	;;#ASMSTART
	v_dot2_f32_f16 v130, v20, v8, v130
	;;#ASMEND
	;;#ASMSTART
	v_dot2_f32_f16 v130, v21, v9, v130
	;;#ASMEND
	;;#ASMSTART
	v_dot2_f32_f16 v130, v22, v10, v130
	;;#ASMEND
	;;#ASMSTART
	v_dot2_f32_f16 v130, v23, v11, v130
	;;#ASMEND
	;;#ASMSTART
	v_dot2_f32_f16 v131, v20, v12, v131
	;;#ASMEND
	;;#ASMSTART
	v_dot2_f32_f16 v131, v21, v13, v131
	;;#ASMEND
	;;#ASMSTART
	v_dot2_f32_f16 v131, v22, v14, v131
	;;#ASMEND
	;;#ASMSTART
	v_dot2_f32_f16 v131, v23, v15, v131
	;;#ASMEND
	;;#ASMSTART
	v_dot2_f32_f16 v132, v20, v16, v132
	;;#ASMEND
	;;#ASMSTART
	v_dot2_f32_f16 v132, v21, v17, v132
	;;#ASMEND
	;;#ASMSTART
	v_dot2_f32_f16 v132, v22, v18, v132
	;;#ASMEND
	;;#ASMSTART
	v_dot2_f32_f16 v132, v23, v19, v132
	;;#ASMEND
	s_wait_dscnt 0x1
	;;#ASMSTART
	v_dot2_f32_f16 v133, v24, v4, v133
	;;#ASMEND
	;;#ASMSTART
	v_dot2_f32_f16 v133, v25, v5, v133
	;;#ASMEND
	;; [unrolled: 3-line block ×16, first 2 shown]
	s_wait_dscnt 0x0
	;;#ASMSTART
	v_dot2_f32_f16 v137, v142, v4, v137
	;;#ASMEND
	;;#ASMSTART
	v_dot2_f32_f16 v137, v143, v5, v137
	;;#ASMEND
	;;#ASMSTART
	v_dot2_f32_f16 v137, v144, v6, v137
	;;#ASMEND
	;;#ASMSTART
	v_dot2_f32_f16 v137, v145, v7, v137
	;;#ASMEND
	;;#ASMSTART
	v_dot2_f32_f16 v138, v142, v8, v138
	;;#ASMEND
	;;#ASMSTART
	v_dot2_f32_f16 v138, v143, v9, v138
	;;#ASMEND
	;;#ASMSTART
	v_dot2_f32_f16 v138, v144, v10, v138
	;;#ASMEND
	;;#ASMSTART
	v_dot2_f32_f16 v138, v145, v11, v138
	;;#ASMEND
	;;#ASMSTART
	v_dot2_f32_f16 v139, v142, v12, v139
	;;#ASMEND
	;;#ASMSTART
	v_dot2_f32_f16 v139, v143, v13, v139
	;;#ASMEND
	;;#ASMSTART
	v_dot2_f32_f16 v139, v144, v14, v139
	;;#ASMEND
	;;#ASMSTART
	v_dot2_f32_f16 v139, v145, v15, v139
	;;#ASMEND
	;;#ASMSTART
	v_dot2_f32_f16 v140, v142, v16, v140
	;;#ASMEND
	;;#ASMSTART
	v_dot2_f32_f16 v140, v143, v17, v140
	;;#ASMEND
	;;#ASMSTART
	v_dot2_f32_f16 v140, v144, v18, v140
	;;#ASMEND
	;;#ASMSTART
	v_dot2_f32_f16 v140, v145, v19, v140
	;;#ASMEND
	ds_load_b128 v[0:3], v83 offset:64
	ds_load_b128 v[4:7], v72 offset:448
	;; [unrolled: 1-line block ×8, first 2 shown]
	s_wait_dscnt 0x6
	;;#ASMSTART
	v_dot2_f32_f16 v125, v0, v4, v125
	;;#ASMEND
	;;#ASMSTART
	v_dot2_f32_f16 v125, v1, v5, v125
	;;#ASMEND
	;;#ASMSTART
	v_dot2_f32_f16 v125, v2, v6, v125
	;;#ASMEND
	;;#ASMSTART
	v_dot2_f32_f16 v125, v3, v7, v125
	;;#ASMEND
	s_wait_dscnt 0x5
	;;#ASMSTART
	v_dot2_f32_f16 v126, v0, v8, v126
	;;#ASMEND
	;;#ASMSTART
	v_dot2_f32_f16 v126, v1, v9, v126
	;;#ASMEND
	;;#ASMSTART
	v_dot2_f32_f16 v126, v2, v10, v126
	;;#ASMEND
	;;#ASMSTART
	v_dot2_f32_f16 v126, v3, v11, v126
	;;#ASMEND
	;; [unrolled: 13-line block ×5, first 2 shown]
	;;#ASMSTART
	v_dot2_f32_f16 v130, v20, v8, v130
	;;#ASMEND
	;;#ASMSTART
	v_dot2_f32_f16 v130, v21, v9, v130
	;;#ASMEND
	;; [unrolled: 3-line block ×12, first 2 shown]
	s_wait_dscnt 0x1
	;;#ASMSTART
	v_dot2_f32_f16 v133, v24, v4, v133
	;;#ASMEND
	;;#ASMSTART
	v_dot2_f32_f16 v133, v25, v5, v133
	;;#ASMEND
	;; [unrolled: 3-line block ×16, first 2 shown]
	s_wait_dscnt 0x0
	;;#ASMSTART
	v_dot2_f32_f16 v137, v142, v4, v137
	;;#ASMEND
	;;#ASMSTART
	v_dot2_f32_f16 v137, v143, v5, v137
	;;#ASMEND
	;; [unrolled: 3-line block ×16, first 2 shown]
	ds_load_b128 v[0:3], v83 offset:80
	ds_load_b128 v[4:7], v72 offset:464
	;; [unrolled: 1-line block ×8, first 2 shown]
	s_wait_dscnt 0x6
	;;#ASMSTART
	v_dot2_f32_f16 v125, v0, v4, v125
	;;#ASMEND
	;;#ASMSTART
	v_dot2_f32_f16 v125, v1, v5, v125
	;;#ASMEND
	;;#ASMSTART
	v_dot2_f32_f16 v125, v2, v6, v125
	;;#ASMEND
	;;#ASMSTART
	v_dot2_f32_f16 v125, v3, v7, v125
	;;#ASMEND
	s_wait_dscnt 0x5
	;;#ASMSTART
	v_dot2_f32_f16 v126, v0, v8, v126
	;;#ASMEND
	;;#ASMSTART
	v_dot2_f32_f16 v126, v1, v9, v126
	;;#ASMEND
	;;#ASMSTART
	v_dot2_f32_f16 v126, v2, v10, v126
	;;#ASMEND
	;;#ASMSTART
	v_dot2_f32_f16 v126, v3, v11, v126
	;;#ASMEND
	;; [unrolled: 13-line block ×5, first 2 shown]
	;;#ASMSTART
	v_dot2_f32_f16 v130, v20, v8, v130
	;;#ASMEND
	;;#ASMSTART
	v_dot2_f32_f16 v130, v21, v9, v130
	;;#ASMEND
	;; [unrolled: 3-line block ×12, first 2 shown]
	s_wait_dscnt 0x1
	;;#ASMSTART
	v_dot2_f32_f16 v133, v24, v4, v133
	;;#ASMEND
	;;#ASMSTART
	v_dot2_f32_f16 v133, v25, v5, v133
	;;#ASMEND
	;; [unrolled: 3-line block ×16, first 2 shown]
	s_wait_dscnt 0x0
	;;#ASMSTART
	v_dot2_f32_f16 v137, v142, v4, v137
	;;#ASMEND
	;;#ASMSTART
	v_dot2_f32_f16 v137, v143, v5, v137
	;;#ASMEND
	;; [unrolled: 3-line block ×16, first 2 shown]
	ds_load_b128 v[0:3], v83 offset:96
	ds_load_b128 v[4:7], v72 offset:480
	;; [unrolled: 1-line block ×8, first 2 shown]
	s_wait_dscnt 0x6
	;;#ASMSTART
	v_dot2_f32_f16 v125, v0, v4, v125
	;;#ASMEND
	;;#ASMSTART
	v_dot2_f32_f16 v125, v1, v5, v125
	;;#ASMEND
	;;#ASMSTART
	v_dot2_f32_f16 v125, v2, v6, v125
	;;#ASMEND
	;;#ASMSTART
	v_dot2_f32_f16 v125, v3, v7, v125
	;;#ASMEND
	s_wait_dscnt 0x5
	;;#ASMSTART
	v_dot2_f32_f16 v126, v0, v8, v126
	;;#ASMEND
	;;#ASMSTART
	v_dot2_f32_f16 v126, v1, v9, v126
	;;#ASMEND
	;;#ASMSTART
	v_dot2_f32_f16 v126, v2, v10, v126
	;;#ASMEND
	;;#ASMSTART
	v_dot2_f32_f16 v126, v3, v11, v126
	;;#ASMEND
	;; [unrolled: 13-line block ×5, first 2 shown]
	;;#ASMSTART
	v_dot2_f32_f16 v130, v20, v8, v130
	;;#ASMEND
	;;#ASMSTART
	v_dot2_f32_f16 v130, v21, v9, v130
	;;#ASMEND
	;; [unrolled: 3-line block ×12, first 2 shown]
	s_wait_dscnt 0x1
	;;#ASMSTART
	v_dot2_f32_f16 v133, v24, v4, v133
	;;#ASMEND
	;;#ASMSTART
	v_dot2_f32_f16 v133, v25, v5, v133
	;;#ASMEND
	;; [unrolled: 3-line block ×16, first 2 shown]
	s_wait_dscnt 0x0
	;;#ASMSTART
	v_dot2_f32_f16 v137, v142, v4, v137
	;;#ASMEND
	;;#ASMSTART
	v_dot2_f32_f16 v137, v143, v5, v137
	;;#ASMEND
	;; [unrolled: 3-line block ×16, first 2 shown]
	ds_load_b128 v[142:145], v83 offset:112
	ds_load_b128 v[16:19], v72 offset:496
	;; [unrolled: 1-line block ×8, first 2 shown]
	s_wait_dscnt 0x6
	;;#ASMSTART
	v_dot2_f32_f16 v125, v142, v16, v125
	;;#ASMEND
	;;#ASMSTART
	v_dot2_f32_f16 v125, v143, v17, v125
	;;#ASMEND
	;;#ASMSTART
	v_dot2_f32_f16 v125, v144, v18, v125
	;;#ASMEND
	;;#ASMSTART
	v_dot2_f32_f16 v125, v145, v19, v125
	;;#ASMEND
	s_wait_dscnt 0x5
	;;#ASMSTART
	v_dot2_f32_f16 v126, v142, v12, v126
	;;#ASMEND
	;;#ASMSTART
	v_dot2_f32_f16 v126, v143, v13, v126
	;;#ASMEND
	;;#ASMSTART
	v_dot2_f32_f16 v126, v144, v14, v126
	;;#ASMEND
	;;#ASMSTART
	v_dot2_f32_f16 v126, v145, v15, v126
	;;#ASMEND
	;; [unrolled: 13-line block ×5, first 2 shown]
	;;#ASMSTART
	v_dot2_f32_f16 v130, v24, v12, v130
	;;#ASMEND
	;;#ASMSTART
	v_dot2_f32_f16 v130, v25, v13, v130
	;;#ASMEND
	;;#ASMSTART
	v_dot2_f32_f16 v130, v26, v14, v130
	;;#ASMEND
	;;#ASMSTART
	v_dot2_f32_f16 v130, v27, v15, v130
	;;#ASMEND
	;;#ASMSTART
	v_dot2_f32_f16 v131, v24, v8, v131
	;;#ASMEND
	;;#ASMSTART
	v_dot2_f32_f16 v131, v25, v9, v131
	;;#ASMEND
	;;#ASMSTART
	v_dot2_f32_f16 v131, v26, v10, v131
	;;#ASMEND
	;;#ASMSTART
	v_dot2_f32_f16 v131, v27, v11, v131
	;;#ASMEND
	;;#ASMSTART
	v_dot2_f32_f16 v132, v24, v0, v132
	;;#ASMEND
	;;#ASMSTART
	v_dot2_f32_f16 v132, v25, v1, v132
	;;#ASMEND
	;;#ASMSTART
	v_dot2_f32_f16 v132, v26, v2, v132
	;;#ASMEND
	;;#ASMSTART
	v_dot2_f32_f16 v132, v27, v3, v132
	;;#ASMEND
	s_wait_dscnt 0x1
	;;#ASMSTART
	v_dot2_f32_f16 v133, v20, v16, v133
	;;#ASMEND
	;;#ASMSTART
	v_dot2_f32_f16 v133, v21, v17, v133
	;;#ASMEND
	;; [unrolled: 3-line block ×16, first 2 shown]
	s_wait_dscnt 0x0
	;;#ASMSTART
	v_dot2_f32_f16 v137, v4, v16, v137
	;;#ASMEND
	;;#ASMSTART
	v_dot2_f32_f16 v137, v5, v17, v137
	;;#ASMEND
	;; [unrolled: 3-line block ×16, first 2 shown]
	s_barrier_signal -1
	s_barrier_wait -1
	s_clause 0x3
	global_load_b128 v[0:3], v[54:55], off offset:512
	global_load_b128 v[4:7], v[56:57], off offset:512
	;; [unrolled: 1-line block ×4, first 2 shown]
	s_wait_loadcnt 0x3
	ds_store_b128 v79, v[0:3]
	s_wait_loadcnt 0x2
	ds_store_b128 v80, v[4:7]
	s_wait_loadcnt 0x1
	ds_store_b128 v81, v[8:11]
	s_wait_loadcnt 0x0
	ds_store_b128 v82, v[12:15]
	s_wait_dscnt 0x0
	s_barrier_signal -1
	s_barrier_wait -1
	ds_load_b128 v[0:3], v83
	ds_load_b128 v[4:7], v72 offset:512
	ds_load_b128 v[8:11], v72 offset:1152
	;; [unrolled: 1-line block ×7, first 2 shown]
	s_wait_dscnt 0x6
	;;#ASMSTART
	v_dot2_f32_f16 v125, v0, v4, v125
	;;#ASMEND
	;;#ASMSTART
	v_dot2_f32_f16 v125, v1, v5, v125
	;;#ASMEND
	;;#ASMSTART
	v_dot2_f32_f16 v125, v2, v6, v125
	;;#ASMEND
	;;#ASMSTART
	v_dot2_f32_f16 v125, v3, v7, v125
	;;#ASMEND
	s_wait_dscnt 0x5
	;;#ASMSTART
	v_dot2_f32_f16 v126, v0, v8, v126
	;;#ASMEND
	;;#ASMSTART
	v_dot2_f32_f16 v126, v1, v9, v126
	;;#ASMEND
	;;#ASMSTART
	v_dot2_f32_f16 v126, v2, v10, v126
	;;#ASMEND
	;;#ASMSTART
	v_dot2_f32_f16 v126, v3, v11, v126
	;;#ASMEND
	;; [unrolled: 13-line block ×5, first 2 shown]
	;;#ASMSTART
	v_dot2_f32_f16 v130, v20, v8, v130
	;;#ASMEND
	;;#ASMSTART
	v_dot2_f32_f16 v130, v21, v9, v130
	;;#ASMEND
	;; [unrolled: 3-line block ×12, first 2 shown]
	s_wait_dscnt 0x1
	;;#ASMSTART
	v_dot2_f32_f16 v133, v24, v4, v133
	;;#ASMEND
	;;#ASMSTART
	v_dot2_f32_f16 v133, v25, v5, v133
	;;#ASMEND
	;;#ASMSTART
	v_dot2_f32_f16 v133, v26, v6, v133
	;;#ASMEND
	;;#ASMSTART
	v_dot2_f32_f16 v133, v27, v7, v133
	;;#ASMEND
	;;#ASMSTART
	v_dot2_f32_f16 v134, v24, v8, v134
	;;#ASMEND
	;;#ASMSTART
	v_dot2_f32_f16 v134, v25, v9, v134
	;;#ASMEND
	;;#ASMSTART
	v_dot2_f32_f16 v134, v26, v10, v134
	;;#ASMEND
	;;#ASMSTART
	v_dot2_f32_f16 v134, v27, v11, v134
	;;#ASMEND
	;;#ASMSTART
	v_dot2_f32_f16 v135, v24, v12, v135
	;;#ASMEND
	;;#ASMSTART
	v_dot2_f32_f16 v135, v25, v13, v135
	;;#ASMEND
	;;#ASMSTART
	v_dot2_f32_f16 v135, v26, v14, v135
	;;#ASMEND
	;;#ASMSTART
	v_dot2_f32_f16 v135, v27, v15, v135
	;;#ASMEND
	;;#ASMSTART
	v_dot2_f32_f16 v136, v24, v16, v136
	;;#ASMEND
	;;#ASMSTART
	v_dot2_f32_f16 v136, v25, v17, v136
	;;#ASMEND
	;;#ASMSTART
	v_dot2_f32_f16 v136, v26, v18, v136
	;;#ASMEND
	;;#ASMSTART
	v_dot2_f32_f16 v136, v27, v19, v136
	;;#ASMEND
	s_wait_dscnt 0x0
	;;#ASMSTART
	v_dot2_f32_f16 v137, v54, v4, v137
	;;#ASMEND
	;;#ASMSTART
	v_dot2_f32_f16 v137, v55, v5, v137
	;;#ASMEND
	;; [unrolled: 3-line block ×16, first 2 shown]
	ds_load_b128 v[0:3], v83 offset:16
	ds_load_b128 v[4:7], v72 offset:528
	ds_load_b128 v[8:11], v72 offset:1168
	ds_load_b128 v[12:15], v72 offset:1808
	ds_load_b128 v[16:19], v72 offset:2448
	ds_load_b128 v[20:23], v83 offset:4624
	ds_load_b128 v[24:27], v83 offset:9232
	ds_load_b128 v[54:57], v83 offset:13840
	s_wait_dscnt 0x6
	;;#ASMSTART
	v_dot2_f32_f16 v125, v0, v4, v125
	;;#ASMEND
	;;#ASMSTART
	v_dot2_f32_f16 v125, v1, v5, v125
	;;#ASMEND
	;;#ASMSTART
	v_dot2_f32_f16 v125, v2, v6, v125
	;;#ASMEND
	;;#ASMSTART
	v_dot2_f32_f16 v125, v3, v7, v125
	;;#ASMEND
	s_wait_dscnt 0x5
	;;#ASMSTART
	v_dot2_f32_f16 v126, v0, v8, v126
	;;#ASMEND
	;;#ASMSTART
	v_dot2_f32_f16 v126, v1, v9, v126
	;;#ASMEND
	;;#ASMSTART
	v_dot2_f32_f16 v126, v2, v10, v126
	;;#ASMEND
	;;#ASMSTART
	v_dot2_f32_f16 v126, v3, v11, v126
	;;#ASMEND
	;; [unrolled: 13-line block ×5, first 2 shown]
	;;#ASMSTART
	v_dot2_f32_f16 v130, v20, v8, v130
	;;#ASMEND
	;;#ASMSTART
	v_dot2_f32_f16 v130, v21, v9, v130
	;;#ASMEND
	;; [unrolled: 3-line block ×12, first 2 shown]
	s_wait_dscnt 0x1
	;;#ASMSTART
	v_dot2_f32_f16 v133, v24, v4, v133
	;;#ASMEND
	;;#ASMSTART
	v_dot2_f32_f16 v133, v25, v5, v133
	;;#ASMEND
	;; [unrolled: 3-line block ×16, first 2 shown]
	s_wait_dscnt 0x0
	;;#ASMSTART
	v_dot2_f32_f16 v137, v54, v4, v137
	;;#ASMEND
	;;#ASMSTART
	v_dot2_f32_f16 v137, v55, v5, v137
	;;#ASMEND
	;; [unrolled: 3-line block ×16, first 2 shown]
	ds_load_b128 v[0:3], v83 offset:32
	ds_load_b128 v[4:7], v72 offset:544
	;; [unrolled: 1-line block ×8, first 2 shown]
	s_wait_dscnt 0x6
	;;#ASMSTART
	v_dot2_f32_f16 v125, v0, v4, v125
	;;#ASMEND
	;;#ASMSTART
	v_dot2_f32_f16 v125, v1, v5, v125
	;;#ASMEND
	;;#ASMSTART
	v_dot2_f32_f16 v125, v2, v6, v125
	;;#ASMEND
	;;#ASMSTART
	v_dot2_f32_f16 v125, v3, v7, v125
	;;#ASMEND
	s_wait_dscnt 0x5
	;;#ASMSTART
	v_dot2_f32_f16 v126, v0, v8, v126
	;;#ASMEND
	;;#ASMSTART
	v_dot2_f32_f16 v126, v1, v9, v126
	;;#ASMEND
	;;#ASMSTART
	v_dot2_f32_f16 v126, v2, v10, v126
	;;#ASMEND
	;;#ASMSTART
	v_dot2_f32_f16 v126, v3, v11, v126
	;;#ASMEND
	;; [unrolled: 13-line block ×5, first 2 shown]
	;;#ASMSTART
	v_dot2_f32_f16 v130, v20, v8, v130
	;;#ASMEND
	;;#ASMSTART
	v_dot2_f32_f16 v130, v21, v9, v130
	;;#ASMEND
	;; [unrolled: 3-line block ×12, first 2 shown]
	s_wait_dscnt 0x1
	;;#ASMSTART
	v_dot2_f32_f16 v133, v24, v4, v133
	;;#ASMEND
	;;#ASMSTART
	v_dot2_f32_f16 v133, v25, v5, v133
	;;#ASMEND
	;; [unrolled: 3-line block ×16, first 2 shown]
	s_wait_dscnt 0x0
	;;#ASMSTART
	v_dot2_f32_f16 v137, v54, v4, v137
	;;#ASMEND
	;;#ASMSTART
	v_dot2_f32_f16 v137, v55, v5, v137
	;;#ASMEND
	;; [unrolled: 3-line block ×16, first 2 shown]
	ds_load_b128 v[0:3], v83 offset:48
	ds_load_b128 v[4:7], v72 offset:560
	;; [unrolled: 1-line block ×8, first 2 shown]
	s_wait_dscnt 0x6
	;;#ASMSTART
	v_dot2_f32_f16 v125, v0, v4, v125
	;;#ASMEND
	;;#ASMSTART
	v_dot2_f32_f16 v125, v1, v5, v125
	;;#ASMEND
	;;#ASMSTART
	v_dot2_f32_f16 v125, v2, v6, v125
	;;#ASMEND
	;;#ASMSTART
	v_dot2_f32_f16 v125, v3, v7, v125
	;;#ASMEND
	s_wait_dscnt 0x5
	;;#ASMSTART
	v_dot2_f32_f16 v126, v0, v8, v126
	;;#ASMEND
	;;#ASMSTART
	v_dot2_f32_f16 v126, v1, v9, v126
	;;#ASMEND
	;;#ASMSTART
	v_dot2_f32_f16 v126, v2, v10, v126
	;;#ASMEND
	;;#ASMSTART
	v_dot2_f32_f16 v126, v3, v11, v126
	;;#ASMEND
	;; [unrolled: 13-line block ×5, first 2 shown]
	;;#ASMSTART
	v_dot2_f32_f16 v130, v20, v8, v130
	;;#ASMEND
	;;#ASMSTART
	v_dot2_f32_f16 v130, v21, v9, v130
	;;#ASMEND
	;; [unrolled: 3-line block ×12, first 2 shown]
	s_wait_dscnt 0x1
	;;#ASMSTART
	v_dot2_f32_f16 v133, v24, v4, v133
	;;#ASMEND
	;;#ASMSTART
	v_dot2_f32_f16 v133, v25, v5, v133
	;;#ASMEND
	;;#ASMSTART
	v_dot2_f32_f16 v133, v26, v6, v133
	;;#ASMEND
	;;#ASMSTART
	v_dot2_f32_f16 v133, v27, v7, v133
	;;#ASMEND
	;;#ASMSTART
	v_dot2_f32_f16 v134, v24, v8, v134
	;;#ASMEND
	;;#ASMSTART
	v_dot2_f32_f16 v134, v25, v9, v134
	;;#ASMEND
	;;#ASMSTART
	v_dot2_f32_f16 v134, v26, v10, v134
	;;#ASMEND
	;;#ASMSTART
	v_dot2_f32_f16 v134, v27, v11, v134
	;;#ASMEND
	;;#ASMSTART
	v_dot2_f32_f16 v135, v24, v12, v135
	;;#ASMEND
	;;#ASMSTART
	v_dot2_f32_f16 v135, v25, v13, v135
	;;#ASMEND
	;;#ASMSTART
	v_dot2_f32_f16 v135, v26, v14, v135
	;;#ASMEND
	;;#ASMSTART
	v_dot2_f32_f16 v135, v27, v15, v135
	;;#ASMEND
	;;#ASMSTART
	v_dot2_f32_f16 v136, v24, v16, v136
	;;#ASMEND
	;;#ASMSTART
	v_dot2_f32_f16 v136, v25, v17, v136
	;;#ASMEND
	;;#ASMSTART
	v_dot2_f32_f16 v136, v26, v18, v136
	;;#ASMEND
	;;#ASMSTART
	v_dot2_f32_f16 v136, v27, v19, v136
	;;#ASMEND
	s_wait_dscnt 0x0
	;;#ASMSTART
	v_dot2_f32_f16 v137, v54, v4, v137
	;;#ASMEND
	;;#ASMSTART
	v_dot2_f32_f16 v137, v55, v5, v137
	;;#ASMEND
	;; [unrolled: 3-line block ×16, first 2 shown]
	ds_load_b128 v[0:3], v83 offset:64
	ds_load_b128 v[4:7], v72 offset:576
	;; [unrolled: 1-line block ×8, first 2 shown]
	s_wait_dscnt 0x6
	;;#ASMSTART
	v_dot2_f32_f16 v125, v0, v4, v125
	;;#ASMEND
	;;#ASMSTART
	v_dot2_f32_f16 v125, v1, v5, v125
	;;#ASMEND
	;;#ASMSTART
	v_dot2_f32_f16 v125, v2, v6, v125
	;;#ASMEND
	;;#ASMSTART
	v_dot2_f32_f16 v125, v3, v7, v125
	;;#ASMEND
	s_wait_dscnt 0x5
	;;#ASMSTART
	v_dot2_f32_f16 v126, v0, v8, v126
	;;#ASMEND
	;;#ASMSTART
	v_dot2_f32_f16 v126, v1, v9, v126
	;;#ASMEND
	;;#ASMSTART
	v_dot2_f32_f16 v126, v2, v10, v126
	;;#ASMEND
	;;#ASMSTART
	v_dot2_f32_f16 v126, v3, v11, v126
	;;#ASMEND
	;; [unrolled: 13-line block ×5, first 2 shown]
	;;#ASMSTART
	v_dot2_f32_f16 v130, v20, v8, v130
	;;#ASMEND
	;;#ASMSTART
	v_dot2_f32_f16 v130, v21, v9, v130
	;;#ASMEND
	;; [unrolled: 3-line block ×12, first 2 shown]
	s_wait_dscnt 0x1
	;;#ASMSTART
	v_dot2_f32_f16 v133, v24, v4, v133
	;;#ASMEND
	;;#ASMSTART
	v_dot2_f32_f16 v133, v25, v5, v133
	;;#ASMEND
	;; [unrolled: 3-line block ×16, first 2 shown]
	s_wait_dscnt 0x0
	;;#ASMSTART
	v_dot2_f32_f16 v137, v54, v4, v137
	;;#ASMEND
	;;#ASMSTART
	v_dot2_f32_f16 v137, v55, v5, v137
	;;#ASMEND
	;; [unrolled: 3-line block ×16, first 2 shown]
	ds_load_b128 v[0:3], v83 offset:80
	ds_load_b128 v[4:7], v72 offset:592
	;; [unrolled: 1-line block ×8, first 2 shown]
	s_wait_dscnt 0x6
	;;#ASMSTART
	v_dot2_f32_f16 v125, v0, v4, v125
	;;#ASMEND
	;;#ASMSTART
	v_dot2_f32_f16 v125, v1, v5, v125
	;;#ASMEND
	;;#ASMSTART
	v_dot2_f32_f16 v125, v2, v6, v125
	;;#ASMEND
	;;#ASMSTART
	v_dot2_f32_f16 v125, v3, v7, v125
	;;#ASMEND
	s_wait_dscnt 0x5
	;;#ASMSTART
	v_dot2_f32_f16 v126, v0, v8, v126
	;;#ASMEND
	;;#ASMSTART
	v_dot2_f32_f16 v126, v1, v9, v126
	;;#ASMEND
	;;#ASMSTART
	v_dot2_f32_f16 v126, v2, v10, v126
	;;#ASMEND
	;;#ASMSTART
	v_dot2_f32_f16 v126, v3, v11, v126
	;;#ASMEND
	;; [unrolled: 13-line block ×5, first 2 shown]
	;;#ASMSTART
	v_dot2_f32_f16 v130, v20, v8, v130
	;;#ASMEND
	;;#ASMSTART
	v_dot2_f32_f16 v130, v21, v9, v130
	;;#ASMEND
	;;#ASMSTART
	v_dot2_f32_f16 v130, v22, v10, v130
	;;#ASMEND
	;;#ASMSTART
	v_dot2_f32_f16 v130, v23, v11, v130
	;;#ASMEND
	;;#ASMSTART
	v_dot2_f32_f16 v131, v20, v12, v131
	;;#ASMEND
	;;#ASMSTART
	v_dot2_f32_f16 v131, v21, v13, v131
	;;#ASMEND
	;;#ASMSTART
	v_dot2_f32_f16 v131, v22, v14, v131
	;;#ASMEND
	;;#ASMSTART
	v_dot2_f32_f16 v131, v23, v15, v131
	;;#ASMEND
	;;#ASMSTART
	v_dot2_f32_f16 v132, v20, v16, v132
	;;#ASMEND
	;;#ASMSTART
	v_dot2_f32_f16 v132, v21, v17, v132
	;;#ASMEND
	;;#ASMSTART
	v_dot2_f32_f16 v132, v22, v18, v132
	;;#ASMEND
	;;#ASMSTART
	v_dot2_f32_f16 v132, v23, v19, v132
	;;#ASMEND
	s_wait_dscnt 0x1
	;;#ASMSTART
	v_dot2_f32_f16 v133, v24, v4, v133
	;;#ASMEND
	;;#ASMSTART
	v_dot2_f32_f16 v133, v25, v5, v133
	;;#ASMEND
	;; [unrolled: 3-line block ×16, first 2 shown]
	s_wait_dscnt 0x0
	;;#ASMSTART
	v_dot2_f32_f16 v137, v54, v4, v137
	;;#ASMEND
	;;#ASMSTART
	v_dot2_f32_f16 v137, v55, v5, v137
	;;#ASMEND
	;; [unrolled: 3-line block ×16, first 2 shown]
	ds_load_b128 v[0:3], v83 offset:96
	ds_load_b128 v[4:7], v72 offset:608
	;; [unrolled: 1-line block ×8, first 2 shown]
	s_wait_dscnt 0x6
	;;#ASMSTART
	v_dot2_f32_f16 v125, v0, v4, v125
	;;#ASMEND
	;;#ASMSTART
	v_dot2_f32_f16 v125, v1, v5, v125
	;;#ASMEND
	;;#ASMSTART
	v_dot2_f32_f16 v125, v2, v6, v125
	;;#ASMEND
	;;#ASMSTART
	v_dot2_f32_f16 v125, v3, v7, v125
	;;#ASMEND
	s_wait_dscnt 0x5
	;;#ASMSTART
	v_dot2_f32_f16 v126, v0, v8, v126
	;;#ASMEND
	;;#ASMSTART
	v_dot2_f32_f16 v126, v1, v9, v126
	;;#ASMEND
	;;#ASMSTART
	v_dot2_f32_f16 v126, v2, v10, v126
	;;#ASMEND
	;;#ASMSTART
	v_dot2_f32_f16 v126, v3, v11, v126
	;;#ASMEND
	;; [unrolled: 13-line block ×5, first 2 shown]
	;;#ASMSTART
	v_dot2_f32_f16 v130, v20, v8, v130
	;;#ASMEND
	;;#ASMSTART
	v_dot2_f32_f16 v130, v21, v9, v130
	;;#ASMEND
	;; [unrolled: 3-line block ×12, first 2 shown]
	s_wait_dscnt 0x1
	;;#ASMSTART
	v_dot2_f32_f16 v133, v24, v4, v133
	;;#ASMEND
	;;#ASMSTART
	v_dot2_f32_f16 v133, v25, v5, v133
	;;#ASMEND
	;; [unrolled: 3-line block ×16, first 2 shown]
	s_wait_dscnt 0x0
	;;#ASMSTART
	v_dot2_f32_f16 v137, v54, v4, v137
	;;#ASMEND
	;;#ASMSTART
	v_dot2_f32_f16 v137, v55, v5, v137
	;;#ASMEND
	;; [unrolled: 3-line block ×16, first 2 shown]
	ds_load_b128 v[0:3], v83 offset:112
	ds_load_b128 v[4:7], v72 offset:624
	;; [unrolled: 1-line block ×8, first 2 shown]
	s_wait_dscnt 0x6
	;;#ASMSTART
	v_dot2_f32_f16 v125, v0, v4, v125
	;;#ASMEND
	;;#ASMSTART
	v_dot2_f32_f16 v125, v1, v5, v125
	;;#ASMEND
	;;#ASMSTART
	v_dot2_f32_f16 v125, v2, v6, v125
	;;#ASMEND
	;;#ASMSTART
	v_dot2_f32_f16 v125, v3, v7, v125
	;;#ASMEND
	s_wait_dscnt 0x5
	;;#ASMSTART
	v_dot2_f32_f16 v126, v0, v8, v126
	;;#ASMEND
	;;#ASMSTART
	v_dot2_f32_f16 v126, v1, v9, v126
	;;#ASMEND
	;;#ASMSTART
	v_dot2_f32_f16 v126, v2, v10, v126
	;;#ASMEND
	;;#ASMSTART
	v_dot2_f32_f16 v126, v3, v11, v126
	;;#ASMEND
	;; [unrolled: 13-line block ×5, first 2 shown]
	;;#ASMSTART
	v_dot2_f32_f16 v130, v20, v8, v130
	;;#ASMEND
	;;#ASMSTART
	v_dot2_f32_f16 v130, v21, v9, v130
	;;#ASMEND
	;; [unrolled: 3-line block ×12, first 2 shown]
	s_wait_dscnt 0x1
	;;#ASMSTART
	v_dot2_f32_f16 v133, v24, v4, v133
	;;#ASMEND
	;;#ASMSTART
	v_dot2_f32_f16 v133, v25, v5, v133
	;;#ASMEND
	;; [unrolled: 3-line block ×16, first 2 shown]
	s_wait_dscnt 0x0
	;;#ASMSTART
	v_dot2_f32_f16 v137, v54, v4, v137
	;;#ASMEND
	;;#ASMSTART
	v_dot2_f32_f16 v137, v55, v5, v137
	;;#ASMEND
	;; [unrolled: 3-line block ×9, first 2 shown]
	v_add_nc_u64_e32 v[66:67], s[2:3], v[46:47]
	;;#ASMSTART
	v_dot2_f32_f16 v139, v55, v13, v139
	;;#ASMEND
	v_add_nc_u64_e32 v[62:63], s[2:3], v[48:49]
	;;#ASMSTART
	v_dot2_f32_f16 v139, v56, v14, v139
	;;#ASMEND
	;;#ASMSTART
	v_dot2_f32_f16 v139, v57, v15, v139
	;;#ASMEND
	;;#ASMSTART
	v_dot2_f32_f16 v140, v54, v16, v140
	;;#ASMEND
	;;#ASMSTART
	v_dot2_f32_f16 v140, v55, v17, v140
	;;#ASMEND
	;;#ASMSTART
	v_dot2_f32_f16 v140, v56, v18, v140
	;;#ASMEND
	;;#ASMSTART
	v_dot2_f32_f16 v140, v57, v19, v140
	;;#ASMEND
	s_clause 0x3
	global_load_u16 v8, v119, s[42:43] scale_offset
	global_load_u16 v9, v119, s[42:43] offset:64 scale_offset
	global_load_u16 v10, v119, s[42:43] offset:128 scale_offset
	;; [unrolled: 1-line block ×3, first 2 shown]
	v_add_nc_u64_e32 v[66:67], v[66:67], v[44:45]
	v_add_nc_u64_e32 v[68:69], v[62:63], v[44:45]
	s_wait_loadcnt 0x0
	s_barrier_signal -1
	s_barrier_wait -1
	s_clause 0x1
	global_load_b128 v[0:3], v[66:67], off
	global_load_b128 v[4:7], v[68:69], off
	v_add_nc_u64_e32 v[142:143], s[2:3], v[52:53]
	v_add_nc_u64_e32 v[64:65], s[2:3], v[50:51]
	s_delay_alu instid0(VALU_DEP_2) | instskip(NEXT) | instid1(VALU_DEP_2)
	v_add_nc_u64_e32 v[62:63], v[142:143], v[44:45]
	v_add_nc_u64_e32 v[64:65], v[64:65], v[44:45]
	v_cvt_f32_f16_e32 v8, v8
	v_cvt_f32_f16_e32 v9, v9
	;; [unrolled: 1-line block ×4, first 2 shown]
	s_delay_alu instid0(VALU_DEP_4) | instskip(NEXT) | instid1(VALU_DEP_4)
	v_dual_add_f32 v12, v125, v8 :: v_dual_add_f32 v16, v126, v8
	v_add_f32_e32 v13, v129, v9
	s_delay_alu instid0(VALU_DEP_4)
	v_dual_add_f32 v14, v133, v10 :: v_dual_add_f32 v17, v130, v9
	s_wait_loadcnt 0x1
	ds_store_b128 v86, v[0:3]
	v_dual_add_f32 v15, v137, v11 :: v_dual_add_f32 v18, v134, v10
	v_dual_add_f32 v19, v138, v11 :: v_dual_add_f32 v20, v127, v8
	;; [unrolled: 1-line block ×5, first 2 shown]
	v_add_f32_e32 v2, 0x40051340, v14
	v_dual_add_f32 v22, v135, v10 :: v_dual_add_f32 v9, v132, v9
	v_dual_add_f32 v3, 0x40051340, v15 :: v_dual_add_f32 v24, 0x40051340, v16
	;; [unrolled: 1-line block ×4, first 2 shown]
	s_delay_alu instid0(VALU_DEP_4)
	v_dual_add_f32 v55, 0x40051340, v21 :: v_dual_add_f32 v56, 0x40051340, v22
	v_max3_num_f32 v0, v118, v0, v1
	v_dual_add_f32 v10, v136, v10 :: v_dual_add_f32 v57, 0x40051340, v23
	v_add_f32_e32 v58, 0x40051340, v8
	v_max3_num_f32 v1, v117, v24, v25
	v_max3_num_f32 v24, v116, v54, v55
	;; [unrolled: 1-line block ×3, first 2 shown]
	v_dual_add_f32 v59, 0x40051340, v9 :: v_dual_add_f32 v60, 0x40051340, v10
	s_delay_alu instid0(VALU_DEP_4) | instskip(NEXT) | instid1(VALU_DEP_4)
	v_max3_num_f32 v1, v1, v26, v27
	v_max3_num_f32 v2, v24, v56, v57
	ds_bpermute_b32 v24, v124, v0
	v_add_f32_e32 v61, 0x40051340, v11
	v_max3_num_f32 v25, v115, v58, v59
	ds_bpermute_b32 v26, v124, v2
	s_wait_dscnt 0x1
	v_max_num_f32_e32 v24, v24, v24
	v_max3_num_f32 v3, v25, v60, v61
	ds_bpermute_b32 v25, v124, v1
	s_wait_dscnt 0x1
	v_dual_max_num_f32 v26, v26, v26 :: v_dual_max_num_f32 v0, v0, v24
	ds_bpermute_b32 v27, v124, v3
	v_max_num_f32_e32 v2, v2, v26
	ds_bpermute_b32 v24, v123, v0
	ds_bpermute_b32 v26, v123, v2
	s_wait_dscnt 0x2
	v_dual_max_num_f32 v25, v25, v25 :: v_dual_max_num_f32 v27, v27, v27
	s_wait_dscnt 0x1
	s_delay_alu instid0(VALU_DEP_1) | instskip(NEXT) | instid1(VALU_DEP_2)
	v_dual_max_num_f32 v1, v1, v25 :: v_dual_max_num_f32 v24, v24, v24
	v_max_num_f32_e32 v3, v3, v27
	ds_bpermute_b32 v25, v123, v1
	s_wait_dscnt 0x1
	v_dual_max_num_f32 v26, v26, v26 :: v_dual_max_num_f32 v0, v0, v24
	ds_bpermute_b32 v27, v123, v3
	v_max_num_f32_e32 v2, v2, v26
	ds_bpermute_b32 v24, v122, v0
	ds_bpermute_b32 v26, v122, v2
	s_wait_dscnt 0x2
	v_dual_max_num_f32 v25, v25, v25 :: v_dual_max_num_f32 v27, v27, v27
	s_wait_dscnt 0x1
	s_delay_alu instid0(VALU_DEP_1) | instskip(NEXT) | instid1(VALU_DEP_2)
	v_dual_max_num_f32 v1, v1, v25 :: v_dual_max_num_f32 v24, v24, v24
	v_max_num_f32_e32 v3, v3, v27
	;; [unrolled: 13-line block ×4, first 2 shown]
	ds_bpermute_b32 v25, v120, v1
	s_wait_dscnt 0x1
	v_dual_max_num_f32 v26, v26, v26 :: v_dual_max_num_f32 v0, v0, v24
	ds_bpermute_b32 v27, v120, v3
	v_dual_max_num_f32 v2, v2, v26 :: v_dual_sub_f32 v24, v12, v0
	v_sub_f32_e32 v54, v14, v0
	s_delay_alu instid0(VALU_DEP_2) | instskip(SKIP_1) | instid1(VALU_DEP_3)
	v_dual_sub_f32 v58, v118, v0 :: v_dual_sub_f32 v60, v116, v2
	v_dual_sub_f32 v20, v20, v2 :: v_dual_sub_f32 v22, v22, v2
	v_mul_f32_e32 v66, 0x3fb8aa3b, v54
	v_cmp_ngt_f32_e64 s7, 0xc2ce8ed0, v24
	v_cmp_ngt_f32_e64 s15, 0xc2ce8ed0, v54
	s_delay_alu instid0(VALU_DEP_4)
	v_mul_f32_e32 v12, 0x3fb8aa3b, v20
	v_cmp_ngt_f32_e64 s3, 0xc2ce8ed0, v20
	s_wait_dscnt 0x1
	v_max_num_f32_e32 v25, v25, v25
	v_fma_f32 v131, 0x3fb8aa3b, v54, -v66
	v_rndne_f32_e32 v146, v66
	v_fma_f32 v127, 0x3fb8aa3b, v20, -v12
	s_wait_dscnt 0x0
	v_dual_max_num_f32 v27, v27, v27 :: v_dual_max_num_f32 v1, v1, v25
	v_dual_sub_f32 v25, v13, v0 :: v_dual_sub_f32 v55, v15, v0
	v_rndne_f32_e32 v143, v12
	s_delay_alu instid0(VALU_DEP_3) | instskip(NEXT) | instid1(VALU_DEP_4)
	v_dual_max_num_f32 v3, v3, v27 :: v_dual_sub_f32 v21, v21, v2
	v_dual_sub_f32 v16, v16, v1 :: v_dual_sub_f32 v59, v117, v1
	s_delay_alu instid0(VALU_DEP_2) | instskip(SKIP_4) | instid1(VALU_DEP_4)
	v_dual_sub_f32 v17, v17, v1 :: v_dual_sub_f32 v26, v8, v3
	v_dual_sub_f32 v61, v115, v3 :: v_dual_mul_f32 v8, 0x3fb8aa3b, v24
	v_sub_f32_e32 v27, v9, v3
	v_mul_f32_e32 v9, 0x3fb8aa3b, v25
	v_dual_sub_f32 v23, v23, v2 :: v_dual_sub_f32 v56, v10, v3
	v_fma_f32 v123, 0x3fb8aa3b, v24, -v8
	v_rndne_f32_e32 v139, v8
	v_mul_f32_e32 v10, 0x3fb8aa3b, v16
	v_mul_f32_e32 v121, 0x3fb8aa3b, v60
	v_fma_f32 v124, 0x3fb8aa3b, v25, -v9
	v_rndne_f32_e32 v140, v9
	v_dual_fmac_f32 v123, 0x32a5705f, v24 :: v_dual_sub_f32 v8, v8, v139
	v_sub_f32_e32 v57, v11, v3
	v_mul_f32_e32 v11, 0x3fb8aa3b, v17
	v_fma_f32 v125, 0x3fb8aa3b, v16, -v10
	v_rndne_f32_e32 v141, v10
	v_dual_fmac_f32 v124, 0x32a5705f, v25 :: v_dual_add_f32 v123, v8, v123
	v_sub_f32_e32 v8, v9, v140
	v_fma_f32 v126, 0x3fb8aa3b, v17, -v11
	v_rndne_f32_e32 v142, v11
	v_dual_fmac_f32 v125, 0x32a5705f, v16 :: v_dual_sub_f32 v18, v18, v1
	s_delay_alu instid0(VALU_DEP_4) | instskip(SKIP_3) | instid1(VALU_DEP_4)
	v_dual_add_f32 v124, v8, v124 :: v_dual_sub_f32 v8, v10, v141
	v_sub_f32_e32 v19, v19, v1
	v_dual_mul_f32 v13, 0x3fb8aa3b, v21 :: v_dual_mul_f32 v14, 0x3fb8aa3b, v26
	v_fmac_f32_e32 v126, 0x32a5705f, v17
	v_dual_add_f32 v8, v8, v125 :: v_dual_sub_f32 v9, v11, v142
	v_mul_f32_e32 v15, 0x3fb8aa3b, v27
	s_wait_xcnt 0x0
	v_dual_mul_f32 v67, 0x3fb8aa3b, v55 :: v_dual_mul_f32 v68, 0x3fb8aa3b, v18
	v_dual_mul_f32 v115, 0x3fb8aa3b, v22 :: v_dual_mul_f32 v116, 0x3fb8aa3b, v23
	v_fma_f32 v128, 0x3fb8aa3b, v21, -v13
	v_rndne_f32_e32 v144, v13
	v_dual_add_f32 v126, v9, v126 :: v_dual_fmac_f32 v127, 0x32a5705f, v20
	s_delay_alu instid0(VALU_DEP_3)
	v_dual_sub_f32 v9, v12, v143 :: v_dual_fmac_f32 v128, 0x32a5705f, v21
	v_fma_f32 v129, 0x3fb8aa3b, v26, -v14
	v_fma_f32 v130, 0x3fb8aa3b, v27, -v15
	;; [unrolled: 1-line block ×4, first 2 shown]
	v_rndne_f32_e32 v145, v14
	v_add_f32_e32 v12, v9, v127
	v_dual_sub_f32 v9, v13, v144 :: v_dual_fmac_f32 v130, 0x32a5705f, v27
	v_dual_mul_f32 v69, 0x3fb8aa3b, v19 :: v_dual_mul_f32 v118, 0x3fb8aa3b, v57
	v_fma_f32 v132, 0x3fb8aa3b, v55, -v67
	v_rndne_f32_e32 v125, v15
	s_delay_alu instid0(VALU_DEP_4)
	v_dual_add_f32 v128, v9, v128 :: v_dual_sub_f32 v9, v14, v145
	v_dual_fmac_f32 v133, 0x32a5705f, v18 :: v_dual_fmac_f32 v136, 0x32a5705f, v23
	v_fmac_f32_e32 v131, 0x32a5705f, v54
	v_fmac_f32_e32 v129, 0x32a5705f, v26
	v_fma_f32 v134, 0x3fb8aa3b, v19, -v69
	v_fmac_f32_e32 v132, 0x32a5705f, v55
	v_rndne_f32_e32 v127, v67
	v_rndne_f32_e32 v149, v115
	v_add_f32_e32 v129, v9, v129
	v_dual_sub_f32 v9, v15, v125 :: v_dual_fmac_f32 v134, 0x32a5705f, v19
	v_dual_mul_f32 v117, 0x3fb8aa3b, v56 :: v_dual_mul_f32 v120, 0x3fb8aa3b, v59
	v_rndne_f32_e32 v147, v68
	s_delay_alu instid0(VALU_DEP_3) | instskip(SKIP_4) | instid1(VALU_DEP_4)
	v_add_f32_e32 v130, v9, v130
	v_dual_sub_f32 v9, v66, v146 :: v_dual_sub_f32 v10, v115, v149
	v_fma_f32 v135, 0x3fb8aa3b, v22, -v115
	v_fma_f32 v137, 0x3fb8aa3b, v56, -v117
	v_rndne_f32_e32 v148, v69
	v_add_f32_e32 v66, v9, v131
	v_sub_f32_e32 v9, v67, v127
	v_dual_mul_f32 v119, 0x3fb8aa3b, v58 :: v_dual_mul_f32 v122, 0x3fb8aa3b, v61
	v_fma_f32 v138, 0x3fb8aa3b, v57, -v118
	v_rndne_f32_e32 v131, v116
	s_delay_alu instid0(VALU_DEP_4) | instskip(SKIP_3) | instid1(VALU_DEP_4)
	v_dual_add_f32 v67, v9, v132 :: v_dual_sub_f32 v9, v68, v147
	v_rndne_f32_e32 v132, v117
	v_fmac_f32_e32 v135, 0x32a5705f, v22
	v_dual_fmac_f32 v137, 0x32a5705f, v56 :: v_dual_fmac_f32 v138, 0x32a5705f, v57
	v_add_f32_e32 v68, v9, v133
	v_rndne_f32_e32 v133, v118
	s_delay_alu instid0(VALU_DEP_4) | instskip(SKIP_2) | instid1(VALU_DEP_3)
	v_dual_sub_f32 v9, v69, v148 :: v_dual_add_f32 v115, v10, v135
	v_sub_f32_e32 v13, v117, v132
	v_fma_f32 v10, 0x3fb8aa3b, v59, -v120
	v_dual_sub_f32 v11, v116, v131 :: v_dual_add_f32 v69, v9, v134
	v_fma_f32 v9, 0x3fb8aa3b, v58, -v119
	s_delay_alu instid0(VALU_DEP_4)
	v_add_f32_e32 v117, v13, v137
	v_rndne_f32_e32 v134, v119
	v_dual_sub_f32 v13, v118, v133 :: v_dual_fmac_f32 v10, 0x32a5705f, v59
	v_add_f32_e32 v116, v11, v136
	v_fma_f32 v11, 0x3fb8aa3b, v60, -v121
	v_rndne_f32_e32 v135, v120
	s_delay_alu instid0(VALU_DEP_4)
	v_add_f32_e32 v118, v13, v138
	v_sub_f32_e32 v13, v119, v134
	v_rndne_f32_e32 v136, v121
	v_fmac_f32_e32 v9, 0x32a5705f, v58
	v_rndne_f32_e32 v137, v122
	v_fmac_f32_e32 v11, 0x32a5705f, v60
	v_exp_f32_e32 v8, v8
	v_exp_f32_e32 v15, v126
	v_dual_add_f32 v119, v13, v9 :: v_dual_sub_f32 v9, v120, v135
	v_exp_f32_e32 v12, v12
	v_cvt_i32_f32_e32 v13, v142
	v_cvt_i32_f32_e32 v14, v143
	v_cmp_ngt_f32_e64 s20, 0xc2ce8ed0, v25
	v_add_f32_e32 v120, v9, v10
	v_fma_f32 v9, 0x3fb8aa3b, v61, -v122
	v_sub_f32_e32 v10, v121, v136
	v_exp_f32_e32 v124, v124
	v_exp_f32_e32 v123, v123
	;; [unrolled: 1-line block ×3, first 2 shown]
	v_fmac_f32_e32 v9, 0x32a5705f, v61
	v_add_f32_e32 v121, v10, v11
	v_sub_f32_e32 v10, v122, v137
	v_cvt_i32_f32_e32 v11, v141
	v_exp_f32_e32 v129, v129
	v_exp_f32_e32 v130, v130
	;; [unrolled: 1-line block ×3, first 2 shown]
	v_add_f32_e32 v122, v10, v9
	v_ldexp_f32 v138, v8, v11
	global_load_b128 v[8:11], v[64:65], off
	s_wait_xcnt 0x0
	v_ldexp_f32 v64, v15, v13
	v_ldexp_f32 v65, v12, v14
	global_load_b128 v[12:15], v[62:63], off
	s_wait_xcnt 0x0
	v_cvt_i32_f32_e32 v63, v140
	v_exp_f32_e32 v69, v69
	v_exp_f32_e32 v119, v119
	;; [unrolled: 1-line block ×4, first 2 shown]
	v_ldexp_f32 v63, v124, v63
	v_exp_f32_e32 v115, v115
	v_exp_f32_e32 v116, v116
	;; [unrolled: 1-line block ×4, first 2 shown]
	v_cvt_i32_f32_e32 v62, v139
	v_cvt_i32_f32_e32 v126, v144
	;; [unrolled: 1-line block ×13, first 2 shown]
	v_exp_f32_e32 v120, v120
	v_exp_f32_e32 v121, v121
	v_cndmask_b32_e64 v63, 0, v63, s20
	v_exp_f32_e32 v122, v122
	v_cvt_i32_f32_e32 v137, v137
	v_cvt_i32_f32_e32 v135, v135
	;; [unrolled: 1-line block ×3, first 2 shown]
	v_cmp_ngt_f32_e32 vcc_lo, 0xc2ce8ed0, v16
	v_cmp_ngt_f32_e64 s2, 0xc2ce8ed0, v17
	v_ldexp_f32 v126, v128, v126
	v_cmp_ngt_f32_e64 s4, 0xc2ce8ed0, v21
	v_ldexp_f32 v128, v129, v139
	;; [unrolled: 2-line block ×4, first 2 shown]
	v_ldexp_f32 v69, v69, v142
	v_cmp_ngt_f32_e64 s10, 0xc2ce8ed0, v19
	v_ldexp_f32 v66, v66, v140
	v_ldexp_f32 v119, v119, v134
	v_cmp_ngt_f32_e64 s19, 0xc2ce8ed0, v58
	v_ldexp_f32 v67, v67, v127
	v_cmp_ngt_f32_e64 s8, 0xc2ce8ed0, v55
	;; [unrolled: 2-line block ×10, first 2 shown]
	v_cmp_nlt_f32_e64 s20, 0x42b17218, v25
	v_cndmask_b32_e32 v25, 0, v138, vcc_lo
	v_cmp_nlt_f32_e32 vcc_lo, 0x42b17218, v16
	v_cndmask_b32_e64 v16, 0, v64, s2
	v_cmp_nlt_f32_e64 s2, 0x42b17218, v17
	v_cndmask_b32_e64 v17, 0, v65, s3
	v_cmp_nlt_f32_e64 s3, 0x42b17218, v20
	;; [unrolled: 2-line block ×5, first 2 shown]
	v_dual_cndmask_b32 v65, 0, v69, s10 :: v_dual_cndmask_b32 v66, 0, v66, s15
	v_cmp_nlt_f32_e64 s15, 0x42b17218, v54
	v_dual_cndmask_b32 v54, 0, v62, s7 :: v_dual_cndmask_b32 v69, 0, v119, s19
	v_cmp_nlt_f32_e64 s19, 0x42b17218, v24
	;; [unrolled: 2-line block ×3, first 2 shown]
	v_cmp_nlt_f32_e64 s9, 0x42b17218, v18
	v_cmp_nlt_f32_e64 s10, 0x42b17218, v19
	v_cndmask_b32_e64 v18, 0, v115, s11
	v_cmp_nlt_f32_e64 s11, 0x42b17218, v22
	v_dual_cndmask_b32 v19, 0, v116, s12 :: v_dual_cndmask_b32 v22, 0, v117, s13
	v_cmp_nlt_f32_e64 s12, 0x42b17218, v23
	v_cmp_nlt_f32_e64 s13, 0x42b17218, v56
	v_dual_cndmask_b32 v23, 0, v118, s14 :: v_dual_cndmask_b32 v62, 0, v120, s16
	v_cmp_nlt_f32_e64 s14, 0x42b17218, v57
	v_cmp_nlt_f32_e64 s7, 0x42b17218, v59
	v_cndmask_b32_e64 v67, 0, v121, s17
	v_cmp_nlt_f32_e64 s16, 0x42b17218, v60
	v_cndmask_b32_e64 v68, 0, v122, s18
	v_cmp_nlt_f32_e64 s17, 0x42b17218, v61
	v_cmp_nlt_f32_e64 s18, 0x42b17218, v58
	v_cndmask_b32_e64 v54, 0x7f800000, v54, s19
	v_cndmask_b32_e32 v55, 0x7f800000, v25, vcc_lo
	v_cndmask_b32_e64 v56, 0x7f800000, v17, s3
	v_cndmask_b32_e64 v57, 0x7f800000, v21, s5
	;; [unrolled: 1-line block ×15, first 2 shown]
	v_cvt_pk_f16_f32 v63, v56, v57
	v_cvt_pk_f16_f32 v62, v54, v55
	;; [unrolled: 1-line block ×4, first 2 shown]
	v_cndmask_b32_e64 v21, 0x7f800000, v68, s17
	v_cndmask_b32_e64 v16, 0x7f800000, v69, s18
	;; [unrolled: 1-line block ×3, first 2 shown]
	v_cvt_pk_f16_f32 v67, v26, v27
	v_cvt_pk_f16_f32 v66, v24, v25
	v_cvt_pk_f16_f32 v69, v18, v19
	v_cvt_pk_f16_f32 v68, v22, v23
	ds_store_2addr_b64 v90, v[62:63], v[64:65] offset1:32
	ds_store_2addr_b64 v90, v[66:67], v[68:69] offset0:64 offset1:96
	s_wait_loadcnt 0x2
	ds_store_b128 v87, v[4:7]
	s_wait_loadcnt 0x1
	ds_store_b128 v88, v[8:11]
	s_wait_loadcnt 0x0
	ds_store_b128 v89, v[12:15]
	s_wait_dscnt 0x0
	s_barrier_signal -1
	s_barrier_wait -1
	ds_load_b128 v[4:7], v85
	v_cvt_f16_f32_e32 v118, v21
	v_pk_add_f32 v[60:61], v[56:57], v[60:61]
	v_cvt_f16_f32_e32 v115, v16
	v_cvt_f16_f32_e32 v116, v17
	;; [unrolled: 1-line block ×3, first 2 shown]
	v_and_b32_e32 v122, 0xffff, v118
	v_pk_add_f32 v[118:119], v[26:27], v[60:61]
	s_or_b32 s2, s22, 32
	s_delay_alu instid0(SALU_CYCLE_1) | instskip(NEXT) | instid1(VALU_DEP_1)
	s_ashr_i32 s3, s2, 31
	v_pk_add_f32 v[18:19], v[18:19], v[118:119]
	s_mul_u64 s[2:3], s[2:3], s[26:27]
	s_delay_alu instid0(SALU_CYCLE_1) | instskip(NEXT) | instid1(VALU_DEP_1)
	s_lshl_b64 s[2:3], s[2:3], 2
	v_pk_fma_f32 v[30:31], v[30:31], v[20:21], v[18:19]
	s_add_nc_u64 s[2:3], s[46:47], s[2:3]
	s_wait_dscnt 0x0
	v_lshrrev_b32_e32 v18, 16, v4
	v_pk_add_f32 v[58:59], v[54:55], v[58:59]
	ds_load_b128 v[8:11], v85 offset:16
	ds_load_b128 v[12:15], v85 offset:32
	ds_load_b128 v[54:57], v85 offset:48
	v_and_b32_e32 v19, 0xffff, v5
	v_dual_lshrrev_b32 v20, 16, v6 :: v_dual_lshrrev_b32 v21, 16, v7
	v_pk_add_f32 v[120:121], v[24:25], v[58:59]
	ds_load_b128 v[24:27], v85 offset:64
	ds_load_b128 v[58:61], v85 offset:80
	;; [unrolled: 1-line block ×4, first 2 shown]
	v_mul_u32_u24_e32 v20, 0x10001, v20
	v_mul_u32_u24_e32 v21, 0x10001, v21
	v_pk_add_f32 v[22:23], v[22:23], v[120:121]
	s_delay_alu instid0(VALU_DEP_1)
	v_pk_fma_f32 v[32:33], v[32:33], v[16:17], v[22:23]
	v_lshrrev_b32_e32 v16, 16, v5
	v_and_b32_e32 v17, 0xffff, v4
	v_and_b32_e32 v22, 0xffff, v6
	;; [unrolled: 1-line block ×3, first 2 shown]
	ds_load_2addr_b64 v[4:7], v91 offset1:32
	s_wait_dscnt 0x7
	v_dual_lshrrev_b32 v118, 16, v9 :: v_dual_lshrrev_b32 v120, 16, v8
	v_and_b32_e32 v119, 0xffff, v8
	v_and_b32_e32 v121, 0xffff, v9
	v_dual_lshrrev_b32 v123, 16, v11 :: v_dual_lshrrev_b32 v124, 16, v10
	v_and_b32_e32 v125, 0xffff, v10
	v_and_b32_e32 v126, 0xffff, v11
	;; [unrolled: 1-line block ×5, first 2 shown]
	v_mul_u32_u24_e32 v11, 0x10001, v122
	s_wait_dscnt 0x6
	v_dual_lshrrev_b32 v127, 16, v13 :: v_dual_lshrrev_b32 v129, 16, v12
	v_and_b32_e32 v128, 0xffff, v12
	v_and_b32_e32 v130, 0xffff, v13
	v_dual_lshrrev_b32 v131, 16, v15 :: v_dual_lshrrev_b32 v132, 16, v14
	v_and_b32_e32 v133, 0xffff, v14
	v_mul_u32_u24_e32 v8, 0x10001, v8
	v_mul_u32_u24_e32 v9, 0x10001, v9
	v_mul_u32_u24_e32 v10, 0x10001, v10
	v_pk_mul_f16 v12, v102, v11
	v_pk_mul_f16 v13, v101, v11
	v_pk_mul_f16 v14, v100, v11
	v_pk_mul_f16 v11, v99, v11
	v_mul_u32_u24_e32 v16, 0x10001, v16
	v_and_b32_e32 v134, 0xffff, v15
	v_pk_mul_f16 v15, v114, v8
	v_pk_mul_f16 v99, v113, v8
	;; [unrolled: 1-line block ×9, first 2 shown]
	s_wait_dscnt 0x0
	v_pk_fma_f16 v12, v4, v16, v12
	v_pk_fma_f16 v13, v5, v16, v13
	;; [unrolled: 1-line block ×4, first 2 shown]
	v_mul_u32_u24_e32 v11, 0x10001, v17
	v_mul_u32_u24_e32 v17, 0x10001, v18
	;; [unrolled: 1-line block ×4, first 2 shown]
	v_lshrrev_b32_e32 v135, 16, v55
	v_pk_fma_f16 v15, v5, v11, v15
	v_pk_fma_f16 v19, v6, v11, v99
	v_pk_fma_f16 v99, v7, v11, v100
	v_pk_mul_f16 v11, v4, v11
	v_pk_fma_f16 v100, v5, v17, v101
	v_pk_fma_f16 v101, v6, v17, v102
	v_pk_fma_f16 v102, v7, v17, v108
	v_pk_mul_f16 v17, v4, v17
	;; [unrolled: 4-line block ×3, first 2 shown]
	ds_load_2addr_b64 v[4:7], v91 offset0:64 offset1:96
	v_pk_fma_f16 v17, v107, v9, v17
	v_pk_fma_f16 v111, v111, v8, v11
	v_and_b32_e32 v136, 0xffff, v54
	v_pk_fma_f16 v18, v104, v10, v18
	ds_load_b128 v[8:11], v85 offset:128
	v_lshrrev_b32_e32 v54, 16, v54
	v_and_b32_e32 v55, 0xffff, v55
	v_dual_lshrrev_b32 v137, 16, v57 :: v_dual_lshrrev_b32 v138, 16, v56
	v_and_b32_e32 v56, 0xffff, v56
	s_delay_alu instid0(VALU_DEP_4)
	v_mul_u32_u24_e32 v54, 0x10001, v54
	v_and_b32_e32 v57, 0xffff, v57
	v_lshrrev_b32_e32 v139, 16, v25
	v_and_b32_e32 v140, 0xffff, v24
	v_lshrrev_b32_e32 v24, 16, v24
	v_and_b32_e32 v25, 0xffff, v25
	v_dual_lshrrev_b32 v141, 16, v27 :: v_dual_lshrrev_b32 v142, 16, v26
	v_and_b32_e32 v26, 0xffff, v26
	s_wait_dscnt 0x1
	v_pk_fma_f16 v100, v5, v20, v100
	v_pk_fma_f16 v101, v6, v20, v101
	;; [unrolled: 1-line block ×4, first 2 shown]
	v_mul_u32_u24_e32 v20, 0x10001, v23
	v_pk_fma_f16 v104, v4, v21, v12
	v_pk_fma_f16 v107, v5, v21, v13
	;; [unrolled: 1-line block ×12, first 2 shown]
	ds_load_2addr_b64 v[4:7], v91 offset0:128 offset1:160
	ds_load_b128 v[12:15], v85 offset:144
	s_wait_dscnt 0x2
	v_dual_lshrrev_b32 v20, 16, v9 :: v_dual_lshrrev_b32 v111, 16, v8
	v_and_b32_e32 v106, 0xffff, v8
	v_mul_u32_u24_e32 v8, 0x10001, v118
	v_and_b32_e32 v114, 0xffff, v9
	v_dual_lshrrev_b32 v115, 16, v11 :: v_dual_lshrrev_b32 v116, 16, v10
	v_and_b32_e32 v117, 0xffff, v10
	v_and_b32_e32 v122, 0xffff, v11
	v_mul_u32_u24_e32 v25, 0x10001, v25
	v_and_b32_e32 v27, 0xffff, v27
	v_mul_u32_u24_e32 v26, 0x10001, v26
	v_lshrrev_b32_e32 v143, 16, v59
	v_and_b32_e32 v144, 0xffff, v58
	v_lshrrev_b32_e32 v58, 16, v58
	v_and_b32_e32 v59, 0xffff, v59
	v_dual_lshrrev_b32 v145, 16, v61 :: v_dual_lshrrev_b32 v146, 16, v60
	s_wait_dscnt 0x1
	v_pk_fma_f16 v9, v4, v8, v104
	v_pk_fma_f16 v10, v5, v8, v107
	;; [unrolled: 1-line block ×4, first 2 shown]
	v_mul_u32_u24_e32 v16, 0x10001, v119
	s_wait_dscnt 0x0
	v_and_b32_e32 v107, 0xffff, v12
	v_lshrrev_b32_e32 v113, 16, v12
	v_mul_u32_u24_e32 v12, 0x10001, v123
	v_and_b32_e32 v118, 0xffff, v13
	v_pk_fma_f16 v21, v5, v16, v21
	v_pk_fma_f16 v19, v6, v16, v19
	;; [unrolled: 1-line block ×4, first 2 shown]
	v_mul_u32_u24_e32 v22, 0x10001, v120
	v_dual_lshrrev_b32 v119, 16, v15 :: v_dual_lshrrev_b32 v120, 16, v14
	v_and_b32_e32 v151, 0xffff, v15
	v_and_b32_e32 v60, 0xffff, v60
	s_delay_alu instid0(VALU_DEP_4)
	v_pk_fma_f16 v100, v5, v22, v100
	v_pk_fma_f16 v101, v6, v22, v101
	;; [unrolled: 1-line block ×4, first 2 shown]
	v_mul_u32_u24_e32 v22, 0x10001, v121
	v_and_b32_e32 v121, 0xffff, v14
	v_and_b32_e32 v61, 0xffff, v61
	v_lshrrev_b32_e32 v147, 16, v63
	v_and_b32_e32 v148, 0xffff, v62
	v_pk_fma_f16 v23, v5, v22, v23
	v_pk_fma_f16 v104, v6, v22, v105
	;; [unrolled: 1-line block ×4, first 2 shown]
	ds_load_2addr_b64 v[4:7], v91 offset0:192 offset1:224
	v_dual_lshrrev_b32 v22, 16, v13 :: v_dual_lshrrev_b32 v62, 16, v62
	v_and_b32_e32 v63, 0xffff, v63
	v_dual_lshrrev_b32 v149, 16, v65 :: v_dual_lshrrev_b32 v150, 16, v64
	v_and_b32_e32 v64, 0xffff, v64
	v_and_b32_e32 v65, 0xffff, v65
	v_lshrrev_b32_e32 v109, 16, v67
	v_and_b32_e32 v110, 0xffff, v66
	v_lshrrev_b32_e32 v66, 16, v66
	v_and_b32_e32 v67, 0xffff, v67
	v_dual_lshrrev_b32 v108, 16, v69 :: v_dual_lshrrev_b32 v112, 16, v68
	v_and_b32_e32 v68, 0xffff, v68
	v_and_b32_e32 v69, 0xffff, v69
	s_wait_dscnt 0x0
	v_pk_fma_f16 v9, v4, v12, v9
	v_pk_fma_f16 v10, v5, v12, v10
	;; [unrolled: 1-line block ×4, first 2 shown]
	v_mul_u32_u24_e32 v12, 0x10001, v125
	s_delay_alu instid0(VALU_DEP_1)
	v_pk_fma_f16 v13, v5, v12, v21
	v_pk_fma_f16 v14, v6, v12, v19
	;; [unrolled: 1-line block ×4, first 2 shown]
	v_mul_u32_u24_e32 v16, 0x10001, v124
	v_mul_u32_u24_e32 v124, 0x10001, v132
	s_delay_alu instid0(VALU_DEP_2)
	v_pk_fma_f16 v19, v5, v16, v100
	v_pk_fma_f16 v21, v6, v16, v101
	;; [unrolled: 1-line block ×4, first 2 shown]
	v_mul_u32_u24_e32 v17, 0x10001, v126
	v_mul_u32_u24_e32 v102, 0x10001, v128
	s_delay_alu instid0(VALU_DEP_2)
	v_pk_fma_f16 v23, v5, v17, v23
	v_pk_fma_f16 v100, v6, v17, v104
	;; [unrolled: 1-line block ×4, first 2 shown]
	ds_load_2addr_b64 v[4:7], v92 offset1:32
	v_mul_u32_u24_e32 v18, 0x10001, v127
	v_mul_u32_u24_e32 v103, 0x10001, v129
	s_wait_dscnt 0x0
	s_delay_alu instid0(VALU_DEP_2)
	v_pk_fma_f16 v104, v4, v18, v9
	v_pk_fma_f16 v105, v5, v18, v10
	;; [unrolled: 1-line block ×8, first 2 shown]
	ds_load_2addr_b64 v[8:11], v92 offset0:64 offset1:96
	v_mul_u32_u24_e32 v102, 0x10001, v130
	v_pk_fma_f16 v19, v5, v103, v19
	v_pk_fma_f16 v21, v6, v103, v21
	;; [unrolled: 1-line block ×8, first 2 shown]
	ds_load_b128 v[4:7], v85 offset:160
	v_mul_u32_u24_e32 v102, 0x10001, v131
	v_mul_u32_u24_e32 v103, 0x10001, v133
	s_wait_dscnt 0x1
	v_pk_fma_f16 v19, v9, v124, v19
	v_pk_fma_f16 v21, v10, v124, v21
	;; [unrolled: 1-line block ×4, first 2 shown]
	v_mul_u32_u24_e32 v124, 0x10001, v134
	v_pk_fma_f16 v104, v8, v102, v104
	v_pk_fma_f16 v105, v9, v102, v105
	;; [unrolled: 1-line block ×8, first 2 shown]
	ds_load_b128 v[12:15], v85 offset:176
	v_pk_fma_f16 v9, v9, v124, v23
	v_pk_fma_f16 v10, v10, v124, v100
	;; [unrolled: 1-line block ×4, first 2 shown]
	s_wait_dscnt 0x1
	v_dual_lshrrev_b32 v124, 16, v5 :: v_dual_lshrrev_b32 v128, 16, v4
	v_and_b32_e32 v127, 0xffff, v4
	v_and_b32_e32 v129, 0xffff, v5
	v_dual_lshrrev_b32 v130, 16, v7 :: v_dual_lshrrev_b32 v131, 16, v6
	v_and_b32_e32 v132, 0xffff, v6
	v_and_b32_e32 v133, 0xffff, v7
	ds_load_2addr_b64 v[4:7], v92 offset0:128 offset1:160
	v_mul_u32_u24_e32 v17, 0x10001, v135
	s_wait_dscnt 0x1
	v_and_b32_e32 v134, 0xffff, v13
	v_lshrrev_b32_e32 v135, 16, v15
	v_and_b32_e32 v152, 0xffff, v14
	v_and_b32_e32 v153, 0xffff, v15
	s_wait_dscnt 0x0
	v_pk_fma_f16 v23, v4, v17, v104
	v_pk_fma_f16 v100, v5, v17, v105
	;; [unrolled: 1-line block ×4, first 2 shown]
	v_mul_u32_u24_e32 v18, 0x10001, v136
	v_pk_fma_f16 v19, v5, v54, v19
	v_pk_fma_f16 v21, v6, v54, v21
	;; [unrolled: 1-line block ×4, first 2 shown]
	v_mul_u32_u24_e32 v54, 0x10001, v55
	v_pk_fma_f16 v102, v5, v18, v102
	v_pk_fma_f16 v104, v6, v18, v125
	;; [unrolled: 1-line block ×8, first 2 shown]
	ds_load_2addr_b64 v[4:7], v92 offset0:192 offset1:224
	v_dual_lshrrev_b32 v123, 16, v13 :: v_dual_lshrrev_b32 v126, 16, v12
	v_and_b32_e32 v125, 0xffff, v12
	v_mul_u32_u24_e32 v12, 0x10001, v137
	v_lshrrev_b32_e32 v136, 16, v14
	s_wait_dscnt 0x0
	s_delay_alu instid0(VALU_DEP_2) | instskip(SKIP_4) | instid1(VALU_DEP_1)
	v_pk_fma_f16 v13, v4, v12, v23
	v_pk_fma_f16 v14, v5, v12, v100
	v_pk_fma_f16 v15, v6, v12, v101
	v_pk_fma_f16 v12, v7, v12, v17
	v_mul_u32_u24_e32 v17, 0x10001, v56
	v_pk_fma_f16 v23, v5, v17, v102
	v_pk_fma_f16 v54, v6, v17, v104
	;; [unrolled: 1-line block ×4, first 2 shown]
	v_mul_u32_u24_e32 v18, 0x10001, v138
	s_delay_alu instid0(VALU_DEP_1) | instskip(SKIP_4) | instid1(VALU_DEP_1)
	v_pk_fma_f16 v19, v5, v18, v19
	v_pk_fma_f16 v21, v6, v18, v21
	;; [unrolled: 1-line block ×4, first 2 shown]
	v_mul_u32_u24_e32 v18, 0x10001, v57
	v_pk_fma_f16 v57, v5, v18, v9
	v_pk_fma_f16 v99, v6, v18, v10
	;; [unrolled: 1-line block ×4, first 2 shown]
	ds_load_2addr_b64 v[4:7], v93 offset1:32
	v_mul_u32_u24_e32 v8, 0x10001, v139
	v_mul_u32_u24_e32 v9, 0x10001, v140
	;; [unrolled: 1-line block ×3, first 2 shown]
	s_wait_dscnt 0x0
	s_delay_alu instid0(VALU_DEP_3)
	v_pk_fma_f16 v13, v4, v8, v13
	v_pk_fma_f16 v14, v5, v8, v14
	;; [unrolled: 1-line block ×12, first 2 shown]
	ds_load_2addr_b64 v[8:11], v93 offset0:64 offset1:96
	v_pk_fma_f16 v56, v5, v25, v57
	v_pk_fma_f16 v57, v6, v25, v99
	v_pk_fma_f16 v99, v7, v25, v100
	v_pk_fma_f16 v18, v4, v25, v18
	ds_load_b128 v[4:7], v85 offset:192
	v_mul_u32_u24_e32 v25, 0x10001, v141
	v_mul_u32_u24_e32 v100, 0x10001, v142
	s_wait_dscnt 0x1
	v_pk_fma_f16 v23, v9, v26, v23
	v_pk_fma_f16 v24, v10, v26, v24
	;; [unrolled: 1-line block ×4, first 2 shown]
	v_mul_u32_u24_e32 v26, 0x10001, v27
	v_pk_fma_f16 v101, v8, v25, v13
	v_pk_fma_f16 v102, v9, v25, v14
	;; [unrolled: 1-line block ×5, first 2 shown]
	ds_load_b128 v[12:15], v85 offset:208
	v_pk_fma_f16 v11, v11, v26, v99
	s_wait_dscnt 0x1
	v_dual_lshrrev_b32 v99, 16, v5 :: v_dual_lshrrev_b32 v138, 16, v4
	v_and_b32_e32 v137, 0xffff, v4
	v_and_b32_e32 v139, 0xffff, v5
	v_dual_lshrrev_b32 v140, 16, v7 :: v_dual_lshrrev_b32 v141, 16, v6
	v_and_b32_e32 v142, 0xffff, v6
	v_and_b32_e32 v154, 0xffff, v7
	ds_load_2addr_b64 v[4:7], v93 offset0:128 offset1:160
	v_pk_fma_f16 v16, v8, v100, v16
	v_pk_fma_f16 v8, v8, v26, v18
	v_mul_u32_u24_e32 v18, 0x10001, v143
	v_pk_fma_f16 v19, v9, v100, v19
	v_pk_fma_f16 v21, v10, v100, v21
	;; [unrolled: 1-line block ×4, first 2 shown]
	v_mul_u32_u24_e32 v57, 0x10001, v64
	v_mul_u32_u24_e32 v64, 0x10001, v120
	s_wait_dscnt 0x1
	v_dual_lshrrev_b32 v143, 16, v13 :: v_dual_lshrrev_b32 v155, 16, v12
	v_and_b32_e32 v156, 0xffff, v13
	v_dual_lshrrev_b32 v157, 16, v15 :: v_dual_lshrrev_b32 v158, 16, v14
	v_and_b32_e32 v159, 0xffff, v14
	v_and_b32_e32 v160, 0xffff, v15
	s_wait_dscnt 0x0
	v_pk_fma_f16 v26, v4, v18, v101
	v_pk_fma_f16 v27, v5, v18, v102
	;; [unrolled: 1-line block ×4, first 2 shown]
	v_mul_u32_u24_e32 v25, 0x10001, v144
	v_and_b32_e32 v144, 0xffff, v12
	v_mul_u32_u24_e32 v12, 0x10001, v145
	s_delay_alu instid0(VALU_DEP_3)
	v_pk_fma_f16 v23, v5, v25, v23
	v_pk_fma_f16 v24, v6, v25, v24
	;; [unrolled: 1-line block ×4, first 2 shown]
	v_mul_u32_u24_e32 v25, 0x10001, v58
	v_mul_u32_u24_e32 v58, 0x10001, v150
	s_delay_alu instid0(VALU_DEP_2) | instskip(SKIP_4) | instid1(VALU_DEP_1)
	v_pk_fma_f16 v19, v5, v25, v19
	v_pk_fma_f16 v21, v6, v25, v21
	;; [unrolled: 1-line block ×4, first 2 shown]
	v_mul_u32_u24_e32 v25, 0x10001, v59
	v_pk_fma_f16 v9, v5, v25, v9
	v_pk_fma_f16 v10, v6, v25, v10
	;; [unrolled: 1-line block ×4, first 2 shown]
	ds_load_2addr_b64 v[4:7], v93 offset0:192 offset1:224
	s_wait_dscnt 0x0
	v_pk_fma_f16 v13, v4, v12, v26
	v_pk_fma_f16 v14, v5, v12, v27
	;; [unrolled: 1-line block ×4, first 2 shown]
	v_mul_u32_u24_e32 v18, 0x10001, v60
	v_mul_u32_u24_e32 v56, 0x10001, v63
	s_delay_alu instid0(VALU_DEP_2) | instskip(SKIP_4) | instid1(VALU_DEP_1)
	v_pk_fma_f16 v23, v5, v18, v23
	v_pk_fma_f16 v24, v6, v18, v24
	;; [unrolled: 1-line block ×4, first 2 shown]
	v_mul_u32_u24_e32 v18, 0x10001, v146
	v_pk_fma_f16 v19, v5, v18, v19
	v_pk_fma_f16 v21, v6, v18, v21
	;; [unrolled: 1-line block ×4, first 2 shown]
	v_mul_u32_u24_e32 v18, 0x10001, v61
	s_delay_alu instid0(VALU_DEP_1)
	v_pk_fma_f16 v27, v5, v18, v9
	v_pk_fma_f16 v54, v6, v18, v10
	;; [unrolled: 1-line block ×4, first 2 shown]
	ds_load_2addr_b64 v[4:7], v94 offset1:32
	v_mul_u32_u24_e32 v8, 0x10001, v147
	v_mul_u32_u24_e32 v9, 0x10001, v148
	;; [unrolled: 1-line block ×4, first 2 shown]
	s_wait_dscnt 0x0
	v_pk_fma_f16 v13, v4, v8, v13
	v_pk_fma_f16 v14, v5, v8, v14
	;; [unrolled: 1-line block ×12, first 2 shown]
	ds_load_2addr_b64 v[8:11], v94 offset0:64 offset1:96
	v_pk_fma_f16 v27, v5, v56, v27
	v_pk_fma_f16 v54, v6, v56, v54
	;; [unrolled: 1-line block ×4, first 2 shown]
	ds_load_b128 v[4:7], v85 offset:224
	v_mul_u32_u24_e32 v56, 0x10001, v149
	s_wait_dscnt 0x1
	s_delay_alu instid0(VALU_DEP_1)
	v_pk_fma_f16 v59, v8, v56, v13
	v_pk_fma_f16 v60, v9, v56, v14
	;; [unrolled: 1-line block ×4, first 2 shown]
	ds_load_b128 v[12:15], v85 offset:240
	s_wait_dscnt 0x1
	v_dual_lshrrev_b32 v145, 16, v5 :: v_dual_lshrrev_b32 v147, 16, v4
	v_and_b32_e32 v146, 0xffff, v4
	v_and_b32_e32 v148, 0xffff, v5
	v_dual_lshrrev_b32 v149, 16, v7 :: v_dual_lshrrev_b32 v150, 16, v6
	v_and_b32_e32 v161, 0xffff, v6
	v_and_b32_e32 v162, 0xffff, v7
	ds_load_2addr_b64 v[4:7], v94 offset0:128 offset1:160
	v_pk_fma_f16 v23, v9, v57, v23
	v_pk_fma_f16 v24, v10, v57, v24
	;; [unrolled: 1-line block ×4, first 2 shown]
	v_mul_u32_u24_e32 v57, 0x10001, v65
	v_pk_fma_f16 v16, v8, v58, v16
	v_pk_fma_f16 v19, v9, v58, v19
	;; [unrolled: 1-line block ×5, first 2 shown]
	v_mul_u32_u24_e32 v18, 0x10001, v109
	v_pk_fma_f16 v9, v9, v57, v27
	v_pk_fma_f16 v10, v10, v57, v54
	;; [unrolled: 1-line block ×3, first 2 shown]
	s_wait_dscnt 0x0
	v_pk_fma_f16 v27, v4, v18, v59
	v_pk_fma_f16 v54, v5, v18, v60
	;; [unrolled: 1-line block ×4, first 2 shown]
	v_mul_u32_u24_e32 v56, 0x10001, v110
	v_mul_u32_u24_e32 v110, 0x10001, v131
	;; [unrolled: 1-line block ×3, first 2 shown]
	s_delay_alu instid0(VALU_DEP_3) | instskip(SKIP_4) | instid1(VALU_DEP_1)
	v_pk_fma_f16 v23, v5, v56, v23
	v_pk_fma_f16 v24, v6, v56, v24
	v_pk_fma_f16 v25, v7, v56, v25
	v_pk_fma_f16 v17, v4, v56, v17
	v_mul_u32_u24_e32 v56, 0x10001, v66
	v_pk_fma_f16 v19, v5, v56, v19
	v_pk_fma_f16 v21, v6, v56, v21
	;; [unrolled: 1-line block ×4, first 2 shown]
	v_mul_u32_u24_e32 v56, 0x10001, v67
	s_delay_alu instid0(VALU_DEP_1)
	v_pk_fma_f16 v57, v5, v56, v9
	v_pk_fma_f16 v58, v6, v56, v10
	;; [unrolled: 1-line block ×4, first 2 shown]
	ds_load_2addr_b64 v[4:7], v94 offset0:192 offset1:224
	v_mul_u32_u24_e32 v11, 0x10001, v112
	v_mul_u32_u24_e32 v8, 0x10001, v108
	;; [unrolled: 1-line block ×5, first 2 shown]
	s_wait_dscnt 0x0
	v_pk_fma_f16 v61, v4, v11, v16
	v_mul_u32_u24_e32 v16, 0x10001, v69
	v_pk_fma_f16 v27, v4, v8, v27
	v_pk_fma_f16 v54, v5, v8, v54
	;; [unrolled: 1-line block ×15, first 2 shown]
	ds_load_2addr_b64 v[4:7], v95 offset1:32
	v_mul_u32_u24_e32 v16, 0x10001, v20
	v_add_nc_u64_e32 v[8:9], s[2:3], v[46:47]
	v_add_nc_u64_e32 v[10:11], s[2:3], v[48:49]
	s_delay_alu instid0(VALU_DEP_2) | instskip(SKIP_1) | instid1(VALU_DEP_3)
	v_add_nc_u64_e32 v[66:67], v[8:9], v[44:45]
	v_mul_u32_u24_e32 v8, 0x10001, v114
	v_add_nc_u64_e32 v[100:101], v[10:11], v[44:45]
	v_mul_u32_u24_e32 v9, 0x10001, v117
	v_mul_u32_u24_e32 v10, 0x10001, v116
	;; [unrolled: 1-line block ×4, first 2 shown]
	s_wait_dscnt 0x0
	v_pk_fma_f16 v20, v4, v16, v27
	v_pk_fma_f16 v27, v5, v16, v54
	;; [unrolled: 1-line block ×4, first 2 shown]
	v_mul_u32_u24_e32 v18, 0x10001, v106
	v_add_nc_u64_e32 v[16:17], s[2:3], v[50:51]
	v_pk_fma_f16 v63, v5, v62, v19
	v_pk_fma_f16 v21, v6, v62, v21
	;; [unrolled: 1-line block ×7, first 2 shown]
	v_add_nc_u64_e32 v[18:19], s[2:3], v[52:53]
	v_pk_fma_f16 v61, v4, v62, v61
	v_add_nc_u64_e32 v[102:103], v[16:17], v[44:45]
	v_pk_fma_f16 v16, v5, v8, v57
	v_pk_fma_f16 v17, v6, v8, v58
	v_mul_u32_u24_e32 v106, 0x10001, v128
	v_and_b32_e32 v128, 0xffff, v15
	v_add_nc_u64_e32 v[104:105], v[18:19], v[44:45]
	v_pk_fma_f16 v18, v7, v8, v59
	v_pk_fma_f16 v19, v4, v8, v56
	ds_load_2addr_b64 v[4:7], v95 offset0:64 offset1:96
	v_mul_u32_u24_e32 v8, 0x10001, v115
	v_mul_u32_u24_e32 v59, 0x10001, v122
	;; [unrolled: 1-line block ×3, first 2 shown]
	s_or_b32 s2, s22, 64
	s_delay_alu instid0(SALU_CYCLE_1) | instskip(NEXT) | instid1(SALU_CYCLE_1)
	s_ashr_i32 s3, s2, 31
	s_mul_u64 s[2:3], s[2:3], s[26:27]
	s_delay_alu instid0(SALU_CYCLE_1) | instskip(NEXT) | instid1(SALU_CYCLE_1)
	s_lshl_b64 s[2:3], s[2:3], 2
	s_add_nc_u64 s[2:3], s[46:47], s[2:3]
	s_wait_dscnt 0x0
	v_pk_fma_f16 v20, v4, v8, v20
	v_pk_fma_f16 v27, v5, v8, v27
	;; [unrolled: 1-line block ×12, first 2 shown]
	ds_load_2addr_b64 v[8:11], v95 offset0:128 offset1:160
	v_pk_fma_f16 v60, v5, v59, v16
	v_pk_fma_f16 v61, v6, v59, v17
	;; [unrolled: 1-line block ×4, first 2 shown]
	ds_load_2addr_b64 v[4:7], v95 offset0:192 offset1:224
	v_mul_u32_u24_e32 v16, 0x10001, v22
	v_mul_u32_u24_e32 v17, 0x10001, v107
	;; [unrolled: 1-line block ×4, first 2 shown]
	s_wait_dscnt 0x1
	v_pk_fma_f16 v20, v8, v16, v20
	v_pk_fma_f16 v22, v9, v16, v27
	;; [unrolled: 1-line block ×12, first 2 shown]
	ds_load_2addr_b64 v[16:19], v96 offset1:32
	v_mul_u32_u24_e32 v58, 0x10001, v118
	s_wait_dscnt 0x1
	v_pk_fma_f16 v24, v6, v63, v24
	v_pk_fma_f16 v25, v7, v63, v25
	;; [unrolled: 1-line block ×8, first 2 shown]
	v_mul_u32_u24_e32 v59, 0x10001, v119
	ds_load_2addr_b64 v[8:11], v96 offset0:64 offset1:96
	v_pk_fma_f16 v69, v6, v64, v21
	v_pk_fma_f16 v26, v7, v64, v26
	v_pk_fma_f16 v57, v4, v64, v57
	v_pk_fma_f16 v65, v4, v59, v20
	v_pk_fma_f16 v68, v5, v59, v22
	v_pk_fma_f16 v27, v6, v59, v27
	v_pk_fma_f16 v54, v7, v59, v54
	v_pk_fma_f16 v59, v5, v63, v23
	v_mul_u32_u24_e32 v63, 0x10001, v151
	ds_load_2addr_b64 v[20:23], v96 offset0:128 offset1:160
	v_mul_u32_u24_e32 v64, 0x10001, v127
	s_wait_dscnt 0x2
	v_pk_fma_f16 v69, v18, v106, v69
	v_pk_fma_f16 v55, v17, v106, v55
	;; [unrolled: 1-line block ×6, first 2 shown]
	v_mul_u32_u24_e32 v63, 0x10001, v124
	ds_load_2addr_b64 v[4:7], v96 offset0:192 offset1:224
	v_pk_fma_f16 v59, v17, v64, v59
	v_pk_fma_f16 v108, v19, v64, v25
	;; [unrolled: 1-line block ×8, first 2 shown]
	v_mul_u32_u24_e32 v64, 0x10001, v129
	v_pk_fma_f16 v109, v19, v106, v26
	v_pk_fma_f16 v57, v16, v106, v57
	ds_load_2addr_b64 v[24:27], v97 offset1:32
	v_mul_u32_u24_e32 v106, 0x10001, v132
	v_pk_fma_f16 v61, v18, v64, v61
	v_pk_fma_f16 v60, v17, v64, v60
	;; [unrolled: 1-line block ×4, first 2 shown]
	v_mul_u32_u24_e32 v64, 0x10001, v130
	s_wait_dscnt 0x3
	v_pk_fma_f16 v69, v10, v110, v69
	v_pk_fma_f16 v114, v10, v112, v61
	v_mul_u32_u24_e32 v61, 0x10001, v126
	v_pk_fma_f16 v59, v9, v106, v59
	v_pk_fma_f16 v65, v8, v64, v65
	;; [unrolled: 1-line block ×8, first 2 shown]
	v_mul_u32_u24_e32 v58, 0x10001, v123
	v_mul_u32_u24_e32 v60, 0x10001, v125
	s_wait_dscnt 0x2
	v_pk_fma_f16 v69, v22, v61, v69
	v_mul_u32_u24_e32 v118, 0x10001, v136
	v_pk_fma_f16 v68, v9, v64, v68
	v_pk_fma_f16 v107, v10, v64, v107
	;; [unrolled: 1-line block ×12, first 2 shown]
	v_mul_u32_u24_e32 v62, 0x10001, v135
	v_mul_u32_u24_e32 v116, 0x10001, v152
	s_wait_dscnt 0x1
	v_pk_fma_f16 v122, v6, v118, v69
	v_mul_u32_u24_e32 v69, 0x10001, v153
	ds_load_2addr_b64 v[16:19], v97 offset0:64 offset1:96
	v_pk_fma_f16 v111, v9, v110, v55
	v_pk_fma_f16 v109, v11, v110, v109
	;; [unrolled: 1-line block ×13, first 2 shown]
	v_mul_u32_u24_e32 v69, 0x10001, v99
	v_pk_fma_f16 v68, v21, v58, v68
	v_pk_fma_f16 v107, v22, v58, v107
	;; [unrolled: 1-line block ×6, first 2 shown]
	s_wait_dscnt 0x1
	v_pk_fma_f16 v99, v24, v69, v119
	v_mul_u32_u24_e32 v119, 0x10001, v137
	v_pk_fma_f16 v68, v5, v62, v68
	v_pk_fma_f16 v107, v6, v62, v107
	;; [unrolled: 1-line block ×7, first 2 shown]
	v_mul_u32_u24_e32 v121, 0x10001, v138
	v_mul_u32_u24_e32 v123, 0x10001, v139
	v_pk_fma_f16 v117, v25, v69, v68
	v_pk_fma_f16 v107, v26, v69, v107
	;; [unrolled: 1-line block ×5, first 2 shown]
	v_mul_u32_u24_e32 v24, 0x10001, v140
	ds_load_2addr_b64 v[54:57], v97 offset0:128 offset1:160
	ds_load_2addr_b64 v[8:11], v97 offset0:192 offset1:224
	ds_load_2addr_b64 v[58:61], v98 offset1:32
	ds_load_2addr_b64 v[20:23], v98 offset0:64 offset1:96
	ds_load_2addr_b64 v[62:65], v98 offset0:128 offset1:160
	;; [unrolled: 1-line block ×3, first 2 shown]
	s_wait_dscnt 0x0
	s_barrier_signal -1
	s_barrier_wait -1
	global_load_b128 v[66:69], v[66:67], off
	v_pk_fma_f16 v115, v25, v119, v115
	v_pk_fma_f16 v108, v27, v119, v108
	v_lshrrev_b32_e32 v119, 16, v13
	v_pk_fma_f16 v111, v25, v121, v111
	v_pk_fma_f16 v122, v26, v121, v122
	;; [unrolled: 1-line block ×3, first 2 shown]
	v_and_b32_e32 v121, 0xffff, v12
	v_pk_fma_f16 v113, v25, v123, v113
	v_pk_fma_f16 v114, v26, v123, v114
	;; [unrolled: 1-line block ×3, first 2 shown]
	v_lshrrev_b32_e32 v123, 16, v12
	v_and_b32_e32 v124, 0xffff, v13
	v_dual_lshrrev_b32 v125, 16, v15 :: v_dual_lshrrev_b32 v126, 16, v14
	v_and_b32_e32 v127, 0xffff, v14
	global_load_b128 v[12:15], v[100:101], off
	s_wait_xcnt 0x0
	v_mul_u32_u24_e32 v100, 0x10001, v142
	v_mul_u32_u24_e32 v101, 0x10001, v141
	v_pk_fma_f16 v99, v16, v24, v99
	v_pk_fma_f16 v117, v17, v24, v117
	;; [unrolled: 1-line block ×4, first 2 shown]
	global_load_b128 v[24:27], v[102:103], off
	v_pk_fma_f16 v115, v17, v100, v115
	v_pk_fma_f16 v120, v18, v100, v120
	;; [unrolled: 1-line block ×8, first 2 shown]
	global_load_b128 v[100:103], v[104:105], off
	s_wait_xcnt 0x0
	v_mul_u32_u24_e32 v104, 0x10001, v154
	v_mul_u32_u24_e32 v105, 0x10001, v143
	v_mul_u32_u24_e32 v129, 0x10001, v144
	v_mul_u32_u24_e32 v130, 0x10001, v155
	v_mul_u32_u24_e32 v132, 0x10001, v157
	v_pk_fma_f16 v17, v17, v104, v113
	v_pk_fma_f16 v18, v18, v104, v114
	;; [unrolled: 1-line block ×4, first 2 shown]
	v_mul_u32_u24_e32 v135, 0x10001, v160
	v_pk_fma_f16 v99, v54, v105, v99
	v_pk_fma_f16 v104, v55, v105, v117
	v_pk_fma_f16 v107, v56, v105, v107
	v_pk_fma_f16 v105, v57, v105, v118
	v_pk_fma_f16 v112, v55, v129, v115
	v_pk_fma_f16 v113, v56, v129, v120
	v_pk_fma_f16 v108, v57, v129, v108
	v_pk_fma_f16 v111, v55, v130, v111
	v_pk_fma_f16 v114, v56, v130, v122
	v_pk_fma_f16 v109, v57, v130, v109
	v_pk_fma_f16 v17, v55, v131, v17
	v_pk_fma_f16 v18, v56, v131, v18
	v_pk_fma_f16 v19, v57, v131, v19
	v_pk_fma_f16 v55, v54, v129, v106
	v_pk_fma_f16 v56, v54, v130, v110
	v_pk_fma_f16 v16, v54, v131, v16
	v_mul_u32_u24_e32 v136, 0x10001, v145
	v_mul_u32_u24_e32 v137, 0x10001, v146
	v_mul_u32_u24_e32 v138, 0x10001, v147
	v_mul_u32_u24_e32 v139, 0x10001, v148
	v_pk_fma_f16 v54, v8, v132, v99
	v_pk_fma_f16 v57, v9, v132, v104
	v_pk_fma_f16 v99, v10, v132, v107
	v_pk_fma_f16 v104, v11, v132, v105
	v_pk_fma_f16 v105, v9, v133, v112
	v_pk_fma_f16 v106, v10, v133, v113
	v_pk_fma_f16 v107, v11, v133, v108
	v_pk_fma_f16 v108, v9, v134, v111
	v_pk_fma_f16 v110, v10, v134, v114
	v_pk_fma_f16 v109, v11, v134, v109
	v_pk_fma_f16 v9, v9, v135, v17
	v_pk_fma_f16 v10, v10, v135, v18
	v_pk_fma_f16 v11, v11, v135, v19
	v_pk_fma_f16 v17, v8, v133, v55
	v_pk_fma_f16 v18, v8, v134, v56
	v_pk_fma_f16 v8, v8, v135, v16
	v_mul_u32_u24_e32 v140, 0x10001, v149
	v_mul_u32_u24_e32 v141, 0x10001, v161
	v_mul_u32_u24_e32 v142, 0x10001, v150
	;; [unrolled: 20-line block ×4, first 2 shown]
	v_pk_fma_f16 v16, v62, v119, v16
	v_pk_fma_f16 v19, v63, v119, v19
	;; [unrolled: 1-line block ×32, first 2 shown]
	s_wait_loadcnt 0x3
	ds_store_b128 v86, v[66:69]
	s_wait_loadcnt 0x2
	ds_store_b128 v87, v[12:15]
	;; [unrolled: 2-line block ×4, first 2 shown]
	s_wait_dscnt 0x0
	s_barrier_signal -1
	s_barrier_wait -1
	ds_load_b128 v[4:7], v85 offset:256
	ds_load_b128 v[8:11], v85 offset:272
	;; [unrolled: 1-line block ×8, first 2 shown]
	s_wait_dscnt 0x7
	v_and_b32_e32 v66, 0xffff, v4
	v_dual_lshrrev_b32 v67, 16, v4 :: v_dual_lshrrev_b32 v69, 16, v5
	v_and_b32_e32 v68, 0xffff, v5
	v_and_b32_e32 v100, 0xffff, v6
	v_dual_lshrrev_b32 v101, 16, v6 :: v_dual_lshrrev_b32 v102, 16, v7
	v_and_b32_e32 v103, 0xffff, v7
	ds_load_2addr_b64 v[4:7], v91 offset1:32
	s_wait_dscnt 0x7
	v_and_b32_e32 v115, 0xffff, v8
	v_dual_lshrrev_b32 v116, 16, v8 :: v_dual_lshrrev_b32 v118, 16, v9
	v_and_b32_e32 v117, 0xffff, v9
	v_and_b32_e32 v119, 0xffff, v10
	v_dual_lshrrev_b32 v120, 16, v10 :: v_dual_lshrrev_b32 v121, 16, v11
	v_mul_u32_u24_e32 v8, 0x10001, v66
	v_mul_u32_u24_e32 v9, 0x10001, v67
	;; [unrolled: 1-line block ×4, first 2 shown]
	v_and_b32_e32 v122, 0xffff, v11
	s_wait_dscnt 0x6
	v_and_b32_e32 v123, 0xffff, v12
	v_dual_lshrrev_b32 v124, 16, v12 :: v_dual_lshrrev_b32 v126, 16, v13
	v_and_b32_e32 v125, 0xffff, v13
	v_and_b32_e32 v127, 0xffff, v14
	v_dual_lshrrev_b32 v128, 16, v14 :: v_dual_lshrrev_b32 v129, 16, v15
	v_and_b32_e32 v130, 0xffff, v15
	s_wait_dscnt 0x0
	v_pk_fma_f16 v12, v4, v8, v112
	v_pk_fma_f16 v13, v5, v8, v99
	;; [unrolled: 1-line block ×12, first 2 shown]
	ds_load_2addr_b64 v[8:11], v91 offset0:64 offset1:96
	v_pk_fma_f16 v62, v4, v69, v62
	v_pk_fma_f16 v63, v5, v69, v63
	;; [unrolled: 1-line block ×4, first 2 shown]
	ds_load_b128 v[4:7], v85 offset:384
	v_mul_u32_u24_e32 v69, 0x10001, v100
	v_mul_u32_u24_e32 v100, 0x10001, v101
	;; [unrolled: 1-line block ×4, first 2 shown]
	v_and_b32_e32 v131, 0xffff, v16
	v_lshrrev_b32_e32 v16, 16, v16
	v_and_b32_e32 v132, 0xffff, v17
	v_lshrrev_b32_e32 v17, 16, v17
	v_and_b32_e32 v133, 0xffff, v18
	v_dual_lshrrev_b32 v18, 16, v18 :: v_dual_lshrrev_b32 v134, 16, v19
	v_mul_u32_u24_e32 v16, 0x10001, v16
	s_delay_alu instid0(VALU_DEP_4)
	v_mul_u32_u24_e32 v17, 0x10001, v17
	v_and_b32_e32 v19, 0xffff, v19
	s_wait_dscnt 0x1
	v_pk_fma_f16 v103, v8, v69, v12
	v_pk_fma_f16 v108, v9, v69, v13
	;; [unrolled: 1-line block ×12, first 2 shown]
	ds_load_b128 v[12:15], v85 offset:400
	v_pk_fma_f16 v8, v8, v102, v62
	v_pk_fma_f16 v9, v9, v102, v63
	;; [unrolled: 1-line block ×4, first 2 shown]
	s_wait_dscnt 0x1
	v_and_b32_e32 v62, 0xffff, v4
	v_dual_lshrrev_b32 v63, 16, v4 :: v_dual_lshrrev_b32 v65, 16, v5
	v_and_b32_e32 v64, 0xffff, v5
	v_and_b32_e32 v106, 0xffff, v6
	v_dual_lshrrev_b32 v107, 16, v6 :: v_dual_lshrrev_b32 v110, 16, v7
	v_and_b32_e32 v111, 0xffff, v7
	ds_load_2addr_b64 v[4:7], v91 offset0:128 offset1:160
	v_mul_u32_u24_e32 v102, 0x10001, v115
	v_and_b32_e32 v135, 0xffff, v20
	v_lshrrev_b32_e32 v20, 16, v20
	v_and_b32_e32 v136, 0xffff, v21
	v_lshrrev_b32_e32 v21, 16, v21
	v_and_b32_e32 v137, 0xffff, v22
	s_wait_dscnt 0x1
	v_and_b32_e32 v112, 0xffff, v12
	v_dual_lshrrev_b32 v113, 16, v12 :: v_dual_lshrrev_b32 v115, 16, v13
	v_mul_u32_u24_e32 v12, 0x10001, v119
	v_and_b32_e32 v114, 0xffff, v13
	v_and_b32_e32 v151, 0xffff, v15
	v_mul_u32_u24_e32 v119, 0x10001, v128
	v_mul_u32_u24_e32 v21, 0x10001, v21
	v_dual_lshrrev_b32 v22, 16, v22 :: v_dual_lshrrev_b32 v138, 16, v23
	v_and_b32_e32 v23, 0xffff, v23
	v_and_b32_e32 v139, 0xffff, v24
	v_lshrrev_b32_e32 v24, 16, v24
	s_wait_dscnt 0x0
	v_pk_fma_f16 v103, v4, v102, v103
	v_pk_fma_f16 v108, v5, v102, v108
	;; [unrolled: 1-line block ×4, first 2 shown]
	v_mul_u32_u24_e32 v102, 0x10001, v116
	v_and_b32_e32 v116, 0xffff, v14
	v_mul_u32_u24_e32 v22, 0x10001, v22
	v_mul_u32_u24_e32 v23, 0x10001, v23
	v_and_b32_e32 v140, 0xffff, v25
	v_pk_fma_f16 v66, v4, v102, v66
	v_pk_fma_f16 v67, v5, v102, v67
	;; [unrolled: 1-line block ×4, first 2 shown]
	v_mul_u32_u24_e32 v102, 0x10001, v117
	v_dual_lshrrev_b32 v117, 16, v14 :: v_dual_lshrrev_b32 v25, 16, v25
	v_mul_u32_u24_e32 v24, 0x10001, v24
	v_and_b32_e32 v141, 0xffff, v26
	s_delay_alu instid0(VALU_DEP_4)
	v_pk_fma_f16 v100, v4, v102, v100
	v_pk_fma_f16 v104, v5, v102, v104
	;; [unrolled: 1-line block ×4, first 2 shown]
	v_mul_u32_u24_e32 v102, 0x10001, v118
	v_dual_lshrrev_b32 v118, 16, v15 :: v_dual_lshrrev_b32 v26, 16, v26
	v_lshrrev_b32_e32 v142, 16, v27
	v_and_b32_e32 v27, 0xffff, v27
	s_delay_alu instid0(VALU_DEP_4)
	v_pk_fma_f16 v8, v4, v102, v8
	v_pk_fma_f16 v9, v5, v102, v9
	;; [unrolled: 1-line block ×4, first 2 shown]
	ds_load_2addr_b64 v[4:7], v91 offset0:192 offset1:224
	v_and_b32_e32 v143, 0xffff, v54
	v_lshrrev_b32_e32 v54, 16, v54
	v_and_b32_e32 v144, 0xffff, v55
	v_lshrrev_b32_e32 v55, 16, v55
	v_and_b32_e32 v145, 0xffff, v56
	v_dual_lshrrev_b32 v56, 16, v56 :: v_dual_lshrrev_b32 v146, 16, v57
	v_and_b32_e32 v57, 0xffff, v57
	v_and_b32_e32 v147, 0xffff, v58
	v_lshrrev_b32_e32 v58, 16, v58
	v_and_b32_e32 v148, 0xffff, v59
	v_lshrrev_b32_e32 v59, 16, v59
	v_and_b32_e32 v149, 0xffff, v60
	v_dual_lshrrev_b32 v60, 16, v60 :: v_dual_lshrrev_b32 v150, 16, v61
	v_and_b32_e32 v61, 0xffff, v61
	s_wait_dscnt 0x0
	v_pk_fma_f16 v13, v4, v12, v103
	v_pk_fma_f16 v14, v5, v12, v108
	v_pk_fma_f16 v15, v6, v12, v109
	v_pk_fma_f16 v12, v7, v12, v69
	v_mul_u32_u24_e32 v69, 0x10001, v120
	v_mul_u32_u24_e32 v109, 0x10001, v126
	;; [unrolled: 1-line block ×3, first 2 shown]
	s_delay_alu instid0(VALU_DEP_3) | instskip(SKIP_4) | instid1(VALU_DEP_1)
	v_pk_fma_f16 v66, v4, v69, v66
	v_pk_fma_f16 v67, v5, v69, v67
	;; [unrolled: 1-line block ×4, first 2 shown]
	v_mul_u32_u24_e32 v99, 0x10001, v122
	v_pk_fma_f16 v100, v4, v99, v100
	v_pk_fma_f16 v102, v5, v99, v104
	;; [unrolled: 1-line block ×4, first 2 shown]
	v_mul_u32_u24_e32 v101, 0x10001, v121
	s_delay_alu instid0(VALU_DEP_1)
	v_pk_fma_f16 v104, v4, v101, v8
	v_pk_fma_f16 v105, v5, v101, v9
	;; [unrolled: 1-line block ×4, first 2 shown]
	ds_load_2addr_b64 v[4:7], v92 offset1:32
	v_mul_u32_u24_e32 v8, 0x10001, v123
	v_mul_u32_u24_e32 v9, 0x10001, v124
	;; [unrolled: 1-line block ×3, first 2 shown]
	s_wait_dscnt 0x0
	s_delay_alu instid0(VALU_DEP_3)
	v_pk_fma_f16 v13, v4, v8, v13
	v_pk_fma_f16 v14, v5, v8, v14
	v_pk_fma_f16 v15, v6, v8, v15
	v_pk_fma_f16 v12, v7, v8, v12
	v_pk_fma_f16 v66, v4, v9, v66
	v_pk_fma_f16 v67, v5, v9, v67
	v_pk_fma_f16 v68, v6, v9, v68
	v_pk_fma_f16 v69, v7, v9, v69
	v_pk_fma_f16 v100, v4, v10, v100
	v_pk_fma_f16 v102, v5, v10, v102
	v_pk_fma_f16 v103, v6, v10, v103
	v_pk_fma_f16 v99, v7, v10, v99
	ds_load_2addr_b64 v[8:11], v92 offset0:64 offset1:96
	v_pk_fma_f16 v104, v4, v109, v104
	v_pk_fma_f16 v105, v5, v109, v105
	;; [unrolled: 1-line block ×4, first 2 shown]
	ds_load_b128 v[4:7], v85 offset:416
	v_mul_u32_u24_e32 v109, 0x10001, v127
	s_wait_dscnt 0x1
	v_pk_fma_f16 v66, v8, v119, v66
	v_pk_fma_f16 v67, v9, v119, v67
	;; [unrolled: 1-line block ×4, first 2 shown]
	v_mul_u32_u24_e32 v119, 0x10001, v129
	v_pk_fma_f16 v121, v8, v109, v13
	v_pk_fma_f16 v122, v9, v109, v14
	;; [unrolled: 1-line block ×8, first 2 shown]
	ds_load_b128 v[12:15], v85 offset:432
	v_pk_fma_f16 v8, v8, v119, v104
	v_pk_fma_f16 v9, v9, v119, v105
	;; [unrolled: 1-line block ×4, first 2 shown]
	s_wait_dscnt 0x1
	v_and_b32_e32 v108, 0xffff, v4
	v_dual_lshrrev_b32 v119, 16, v4 :: v_dual_lshrrev_b32 v124, 16, v5
	v_and_b32_e32 v120, 0xffff, v5
	v_and_b32_e32 v125, 0xffff, v6
	v_dual_lshrrev_b32 v126, 16, v6 :: v_dual_lshrrev_b32 v127, 16, v7
	v_and_b32_e32 v128, 0xffff, v7
	ds_load_2addr_b64 v[4:7], v92 offset0:128 offset1:160
	v_mul_u32_u24_e32 v101, 0x10001, v131
	s_wait_dscnt 0x1
	v_and_b32_e32 v129, 0xffff, v14
	v_dual_lshrrev_b32 v130, 16, v14 :: v_dual_lshrrev_b32 v131, 16, v15
	s_wait_dscnt 0x0
	v_pk_fma_f16 v66, v4, v16, v66
	v_pk_fma_f16 v67, v5, v16, v67
	;; [unrolled: 1-line block ×4, first 2 shown]
	v_mul_u32_u24_e32 v69, 0x10001, v132
	v_pk_fma_f16 v104, v4, v101, v121
	v_pk_fma_f16 v105, v5, v101, v122
	;; [unrolled: 1-line block ×12, first 2 shown]
	ds_load_2addr_b64 v[4:7], v92 offset0:192 offset1:224
	v_mul_u32_u24_e32 v17, 0x10001, v18
	v_and_b32_e32 v99, 0xffff, v12
	v_dual_lshrrev_b32 v109, 16, v12 :: v_dual_lshrrev_b32 v123, 16, v13
	v_mul_u32_u24_e32 v12, 0x10001, v133
	v_and_b32_e32 v122, 0xffff, v13
	v_and_b32_e32 v132, 0xffff, v15
	s_wait_dscnt 0x0
	v_pk_fma_f16 v18, v4, v17, v66
	v_pk_fma_f16 v66, v5, v17, v67
	;; [unrolled: 1-line block ×4, first 2 shown]
	v_mul_u32_u24_e32 v17, 0x10001, v19
	v_pk_fma_f16 v13, v4, v12, v104
	v_pk_fma_f16 v14, v5, v12, v105
	;; [unrolled: 1-line block ×8, first 2 shown]
	v_mul_u32_u24_e32 v69, 0x10001, v134
	s_delay_alu instid0(VALU_DEP_1)
	v_pk_fma_f16 v101, v4, v69, v8
	v_pk_fma_f16 v102, v5, v69, v9
	;; [unrolled: 1-line block ×4, first 2 shown]
	ds_load_2addr_b64 v[4:7], v93 offset1:32
	v_mul_u32_u24_e32 v8, 0x10001, v135
	v_mul_u32_u24_e32 v9, 0x10001, v20
	;; [unrolled: 1-line block ×3, first 2 shown]
	s_wait_dscnt 0x0
	s_delay_alu instid0(VALU_DEP_3)
	v_pk_fma_f16 v13, v4, v8, v13
	v_pk_fma_f16 v14, v5, v8, v14
	;; [unrolled: 1-line block ×12, first 2 shown]
	ds_load_2addr_b64 v[8:11], v93 offset0:64 offset1:96
	v_pk_fma_f16 v100, v4, v21, v101
	v_pk_fma_f16 v101, v5, v21, v102
	;; [unrolled: 1-line block ×4, first 2 shown]
	ds_load_b128 v[4:7], v85 offset:448
	v_mul_u32_u24_e32 v69, 0x10001, v137
	s_wait_dscnt 0x1
	s_delay_alu instid0(VALU_DEP_1)
	v_pk_fma_f16 v103, v8, v69, v13
	v_pk_fma_f16 v104, v9, v69, v14
	;; [unrolled: 1-line block ×12, first 2 shown]
	ds_load_b128 v[12:15], v85 offset:464
	v_mul_u32_u24_e32 v23, 0x10001, v138
	s_wait_dscnt 0x1
	v_and_b32_e32 v68, 0xffff, v4
	v_dual_lshrrev_b32 v121, 16, v4 :: v_dual_lshrrev_b32 v134, 16, v5
	v_and_b32_e32 v133, 0xffff, v5
	v_and_b32_e32 v135, 0xffff, v6
	v_dual_lshrrev_b32 v136, 16, v6 :: v_dual_lshrrev_b32 v137, 16, v7
	v_and_b32_e32 v138, 0xffff, v7
	ds_load_2addr_b64 v[4:7], v93 offset0:128 offset1:160
	v_pk_fma_f16 v8, v8, v23, v100
	v_pk_fma_f16 v9, v9, v23, v101
	;; [unrolled: 1-line block ×4, first 2 shown]
	v_mul_u32_u24_e32 v21, 0x10001, v139
	v_mul_u32_u24_e32 v68, 0x10001, v68
	s_wait_dscnt 0x1
	v_and_b32_e32 v139, 0xffff, v12
	v_and_b32_e32 v152, 0xffff, v13
	v_lshrrev_b32_e32 v153, 16, v13
	v_and_b32_e32 v154, 0xffff, v14
	v_dual_lshrrev_b32 v155, 16, v14 :: v_dual_lshrrev_b32 v156, 16, v15
	v_and_b32_e32 v157, 0xffff, v15
	s_wait_dscnt 0x0
	v_pk_fma_f16 v18, v4, v24, v18
	v_pk_fma_f16 v20, v5, v24, v20
	;; [unrolled: 1-line block ×4, first 2 shown]
	v_mul_u32_u24_e32 v24, 0x10001, v140
	v_pk_fma_f16 v23, v4, v21, v103
	v_pk_fma_f16 v100, v5, v21, v104
	;; [unrolled: 1-line block ×8, first 2 shown]
	v_mul_u32_u24_e32 v24, 0x10001, v25
	v_lshrrev_b32_e32 v140, 16, v12
	v_mul_u32_u24_e32 v12, 0x10001, v141
	s_delay_alu instid0(VALU_DEP_3)
	v_pk_fma_f16 v8, v4, v24, v8
	v_pk_fma_f16 v9, v5, v24, v9
	;; [unrolled: 1-line block ×4, first 2 shown]
	ds_load_2addr_b64 v[4:7], v93 offset0:192 offset1:224
	s_wait_dscnt 0x0
	v_pk_fma_f16 v13, v4, v12, v23
	v_pk_fma_f16 v14, v5, v12, v100
	;; [unrolled: 1-line block ×4, first 2 shown]
	v_mul_u32_u24_e32 v21, 0x10001, v26
	s_delay_alu instid0(VALU_DEP_1) | instskip(SKIP_4) | instid1(VALU_DEP_1)
	v_pk_fma_f16 v18, v4, v21, v18
	v_pk_fma_f16 v20, v5, v21, v20
	;; [unrolled: 1-line block ×4, first 2 shown]
	v_mul_u32_u24_e32 v21, 0x10001, v27
	v_pk_fma_f16 v19, v4, v21, v19
	v_pk_fma_f16 v22, v5, v21, v22
	;; [unrolled: 1-line block ×4, first 2 shown]
	v_mul_u32_u24_e32 v21, 0x10001, v142
	s_delay_alu instid0(VALU_DEP_1)
	v_pk_fma_f16 v25, v4, v21, v8
	v_pk_fma_f16 v26, v5, v21, v9
	;; [unrolled: 1-line block ×4, first 2 shown]
	ds_load_2addr_b64 v[4:7], v94 offset1:32
	v_mul_u32_u24_e32 v8, 0x10001, v143
	v_mul_u32_u24_e32 v9, 0x10001, v54
	;; [unrolled: 1-line block ×6, first 2 shown]
	s_wait_dscnt 0x0
	v_pk_fma_f16 v13, v4, v8, v13
	v_pk_fma_f16 v14, v5, v8, v14
	v_pk_fma_f16 v15, v6, v8, v15
	v_pk_fma_f16 v12, v7, v8, v12
	v_pk_fma_f16 v18, v4, v9, v18
	v_pk_fma_f16 v20, v5, v9, v20
	v_pk_fma_f16 v23, v6, v9, v23
	v_pk_fma_f16 v16, v7, v9, v16
	v_pk_fma_f16 v19, v4, v10, v19
	v_pk_fma_f16 v22, v5, v10, v22
	v_pk_fma_f16 v24, v6, v10, v24
	v_pk_fma_f16 v17, v7, v10, v17
	ds_load_2addr_b64 v[8:11], v94 offset0:64 offset1:96
	v_pk_fma_f16 v25, v4, v54, v25
	v_pk_fma_f16 v26, v5, v54, v26
	v_pk_fma_f16 v27, v6, v54, v27
	v_pk_fma_f16 v21, v7, v54, v21
	ds_load_b128 v[4:7], v85 offset:480
	v_mul_u32_u24_e32 v54, 0x10001, v145
	s_wait_dscnt 0x1
	s_delay_alu instid0(VALU_DEP_1)
	v_pk_fma_f16 v57, v8, v54, v13
	v_pk_fma_f16 v66, v9, v54, v14
	;; [unrolled: 1-line block ×8, first 2 shown]
	ds_load_b128 v[12:15], v85 offset:496
	v_mul_u32_u24_e32 v55, 0x10001, v146
	s_wait_dscnt 0x1
	v_and_b32_e32 v141, 0xffff, v4
	v_dual_lshrrev_b32 v142, 16, v4 :: v_dual_lshrrev_b32 v144, 16, v5
	v_and_b32_e32 v143, 0xffff, v5
	v_and_b32_e32 v145, 0xffff, v6
	v_dual_lshrrev_b32 v146, 16, v6 :: v_dual_lshrrev_b32 v158, 16, v7
	v_and_b32_e32 v159, 0xffff, v7
	ds_load_2addr_b64 v[4:7], v94 offset0:128 offset1:160
	v_pk_fma_f16 v17, v11, v56, v17
	v_pk_fma_f16 v11, v11, v55, v21
	v_mul_u32_u24_e32 v21, 0x10001, v147
	v_pk_fma_f16 v19, v8, v56, v19
	v_pk_fma_f16 v22, v9, v56, v22
	;; [unrolled: 1-line block ×6, first 2 shown]
	s_wait_dscnt 0x0
	v_pk_fma_f16 v25, v4, v21, v57
	v_pk_fma_f16 v26, v5, v21, v66
	;; [unrolled: 1-line block ×4, first 2 shown]
	v_mul_u32_u24_e32 v54, 0x10001, v58
	s_delay_alu instid0(VALU_DEP_1) | instskip(SKIP_4) | instid1(VALU_DEP_1)
	v_pk_fma_f16 v18, v4, v54, v18
	v_pk_fma_f16 v20, v5, v54, v20
	;; [unrolled: 1-line block ×4, first 2 shown]
	v_mul_u32_u24_e32 v54, 0x10001, v148
	v_pk_fma_f16 v19, v4, v54, v19
	v_pk_fma_f16 v22, v5, v54, v22
	;; [unrolled: 1-line block ×4, first 2 shown]
	v_mul_u32_u24_e32 v54, 0x10001, v59
	s_delay_alu instid0(VALU_DEP_1)
	v_pk_fma_f16 v55, v4, v54, v8
	v_pk_fma_f16 v56, v5, v54, v9
	;; [unrolled: 1-line block ×4, first 2 shown]
	ds_load_2addr_b64 v[4:7], v94 offset0:192 offset1:224
	v_mul_u32_u24_e32 v10, 0x10001, v60
	v_mul_u32_u24_e32 v8, 0x10001, v149
	v_mul_u32_u24_e32 v11, 0x10001, v61
	v_mul_u32_u24_e32 v60, 0x10001, v63
	v_mul_u32_u24_e32 v61, 0x10001, v64
	v_mul_u32_u24_e32 v63, 0x10001, v117
	v_mul_u32_u24_e32 v64, 0x10001, v151
	s_wait_dscnt 0x0
	v_pk_fma_f16 v58, v7, v10, v16
	v_mul_u32_u24_e32 v16, 0x10001, v150
	v_pk_fma_f16 v25, v4, v8, v25
	v_pk_fma_f16 v26, v5, v8, v26
	;; [unrolled: 1-line block ×15, first 2 shown]
	ds_load_2addr_b64 v[4:7], v95 offset1:32
	v_add_nc_u64_e32 v[8:9], s[2:3], v[46:47]
	v_mul_u32_u24_e32 v16, 0x10001, v62
	v_add_nc_u64_e32 v[10:11], s[2:3], v[48:49]
	s_delay_alu instid0(VALU_DEP_3) | instskip(SKIP_1) | instid1(VALU_DEP_3)
	v_add_nc_u64_e32 v[66:67], v[8:9], v[44:45]
	v_mul_u32_u24_e32 v8, 0x10001, v65
	v_add_nc_u64_e32 v[100:101], v[10:11], v[44:45]
	v_mul_u32_u24_e32 v9, 0x10001, v107
	v_mul_u32_u24_e32 v10, 0x10001, v111
	;; [unrolled: 1-line block ×3, first 2 shown]
	s_wait_dscnt 0x0
	v_pk_fma_f16 v25, v4, v16, v25
	v_pk_fma_f16 v26, v5, v16, v26
	;; [unrolled: 1-line block ×4, first 2 shown]
	v_add_nc_u64_e32 v[16:17], s[2:3], v[50:51]
	v_pk_fma_f16 v62, v4, v60, v18
	v_pk_fma_f16 v20, v5, v60, v20
	;; [unrolled: 1-line block ×5, first 2 shown]
	v_add_nc_u64_e32 v[18:19], s[2:3], v[52:53]
	v_pk_fma_f16 v22, v5, v61, v22
	v_pk_fma_f16 v24, v6, v61, v24
	v_pk_fma_f16 v59, v7, v61, v59
	v_add_nc_u64_e32 v[102:103], v[16:17], v[44:45]
	v_pk_fma_f16 v16, v4, v8, v55
	v_pk_fma_f16 v17, v5, v8, v56
	v_add_nc_u64_e32 v[104:105], v[18:19], v[44:45]
	v_pk_fma_f16 v18, v6, v8, v57
	v_pk_fma_f16 v19, v7, v8, v54
	ds_load_2addr_b64 v[4:7], v95 offset0:64 offset1:96
	v_mul_u32_u24_e32 v8, 0x10001, v106
	v_mul_u32_u24_e32 v106, 0x10001, v119
	s_or_b32 s2, s22, 0x60
	s_delay_alu instid0(SALU_CYCLE_1) | instskip(NEXT) | instid1(SALU_CYCLE_1)
	s_ashr_i32 s3, s2, 31
	s_mul_u64 s[2:3], s[2:3], s[26:27]
	s_delay_alu instid0(SALU_CYCLE_1) | instskip(NEXT) | instid1(SALU_CYCLE_1)
	s_lshl_b64 s[2:3], s[2:3], 2
	s_add_nc_u64 s[2:3], s[46:47], s[2:3]
	s_wait_dscnt 0x0
	v_pk_fma_f16 v25, v4, v8, v25
	v_pk_fma_f16 v26, v5, v8, v26
	;; [unrolled: 1-line block ×12, first 2 shown]
	ds_load_2addr_b64 v[8:11], v95 offset0:128 offset1:160
	v_mul_u32_u24_e32 v58, 0x10001, v110
	v_mul_u32_u24_e32 v62, 0x10001, v115
	s_delay_alu instid0(VALU_DEP_2)
	v_pk_fma_f16 v59, v4, v58, v16
	v_pk_fma_f16 v60, v5, v58, v17
	;; [unrolled: 1-line block ×4, first 2 shown]
	ds_load_2addr_b64 v[4:7], v95 offset0:192 offset1:224
	v_mul_u32_u24_e32 v16, 0x10001, v112
	v_mul_u32_u24_e32 v17, 0x10001, v113
	;; [unrolled: 1-line block ×5, first 2 shown]
	v_lshrrev_b32_e32 v127, 16, v15
	v_and_b32_e32 v128, 0xffff, v15
	s_wait_dscnt 0x1
	v_pk_fma_f16 v25, v8, v16, v25
	v_pk_fma_f16 v26, v9, v16, v26
	;; [unrolled: 1-line block ×12, first 2 shown]
	ds_load_2addr_b64 v[16:19], v96 offset1:32
	v_pk_fma_f16 v59, v8, v62, v59
	v_pk_fma_f16 v60, v9, v62, v60
	;; [unrolled: 1-line block ×4, first 2 shown]
	ds_load_2addr_b64 v[8:11], v96 offset0:64 offset1:96
	v_mul_u32_u24_e32 v62, 0x10001, v116
	s_wait_dscnt 0x2
	v_pk_fma_f16 v54, v4, v63, v54
	v_pk_fma_f16 v65, v5, v63, v20
	;; [unrolled: 1-line block ×8, first 2 shown]
	v_mul_u32_u24_e32 v64, 0x10001, v118
	v_pk_fma_f16 v25, v4, v62, v25
	v_pk_fma_f16 v26, v5, v62, v26
	;; [unrolled: 1-line block ×4, first 2 shown]
	ds_load_2addr_b64 v[20:23], v96 offset0:128 offset1:160
	v_pk_fma_f16 v59, v4, v64, v59
	v_pk_fma_f16 v60, v5, v64, v60
	;; [unrolled: 1-line block ×4, first 2 shown]
	v_mul_u32_u24_e32 v64, 0x10001, v108
	s_wait_dscnt 0x2
	v_pk_fma_f16 v54, v16, v106, v54
	v_pk_fma_f16 v55, v19, v106, v55
	ds_load_2addr_b64 v[4:7], v96 offset0:192 offset1:224
	v_pk_fma_f16 v56, v16, v107, v56
	v_pk_fma_f16 v108, v16, v64, v25
	;; [unrolled: 1-line block ×7, first 2 shown]
	v_mul_u32_u24_e32 v106, 0x10001, v124
	v_pk_fma_f16 v63, v17, v107, v63
	v_pk_fma_f16 v69, v18, v107, v24
	;; [unrolled: 1-line block ×3, first 2 shown]
	ds_load_2addr_b64 v[24:27], v97 offset1:32
	v_pk_fma_f16 v59, v16, v106, v59
	v_pk_fma_f16 v60, v17, v106, v60
	;; [unrolled: 1-line block ×4, first 2 shown]
	v_mul_u32_u24_e32 v106, 0x10001, v125
	v_mul_u32_u24_e32 v107, 0x10001, v126
	s_wait_dscnt 0x3
	v_pk_fma_f16 v113, v8, v112, v56
	v_pk_fma_f16 v63, v9, v112, v63
	;; [unrolled: 1-line block ×9, first 2 shown]
	v_mul_u32_u24_e32 v58, 0x10001, v99
	v_mul_u32_u24_e32 v60, 0x10001, v122
	v_pk_fma_f16 v108, v8, v106, v108
	v_pk_fma_f16 v110, v9, v106, v110
	;; [unrolled: 1-line block ×7, first 2 shown]
	v_mul_u32_u24_e32 v59, 0x10001, v109
	s_wait_dscnt 0x2
	v_pk_fma_f16 v109, v22, v58, v111
	v_pk_fma_f16 v111, v23, v60, v112
	v_mul_u32_u24_e32 v112, 0x10001, v123
	ds_load_2addr_b64 v[16:19], v97 offset0:64 offset1:96
	v_pk_fma_f16 v99, v20, v58, v108
	v_pk_fma_f16 v108, v21, v58, v110
	;; [unrolled: 1-line block ×12, first 2 shown]
	v_mul_u32_u24_e32 v117, 0x10001, v130
	v_mul_u32_u24_e32 v118, 0x10001, v132
	v_pk_fma_f16 v62, v23, v58, v62
	v_pk_fma_f16 v112, v23, v112, v114
	v_mul_u32_u24_e32 v114, 0x10001, v129
	s_wait_dscnt 0x2
	v_pk_fma_f16 v106, v4, v117, v106
	v_pk_fma_f16 v119, v5, v117, v64
	;; [unrolled: 1-line block ×8, first 2 shown]
	v_mul_u32_u24_e32 v69, 0x10001, v131
	v_mul_u32_u24_e32 v118, 0x10001, v121
	;; [unrolled: 1-line block ×3, first 2 shown]
	v_pk_fma_f16 v99, v4, v114, v99
	v_pk_fma_f16 v108, v5, v114, v108
	;; [unrolled: 1-line block ×5, first 2 shown]
	s_wait_dscnt 0x1
	v_pk_fma_f16 v106, v24, v118, v106
	v_pk_fma_f16 v119, v25, v118, v119
	v_pk_fma_f16 v120, v26, v118, v120
	v_pk_fma_f16 v107, v27, v118, v107
	v_and_b32_e32 v118, 0xffff, v12
	v_pk_fma_f16 v110, v24, v121, v110
	v_pk_fma_f16 v117, v25, v121, v117
	;; [unrolled: 1-line block ×4, first 2 shown]
	v_dual_lshrrev_b32 v121, 16, v12 :: v_dual_lshrrev_b32 v124, 16, v13
	v_mul_u32_u24_e32 v12, 0x10001, v134
	v_pk_fma_f16 v115, v5, v69, v115
	v_pk_fma_f16 v116, v6, v69, v116
	;; [unrolled: 1-line block ×8, first 2 shown]
	v_mul_u32_u24_e32 v24, 0x10001, v135
	ds_load_2addr_b64 v[54:57], v97 offset0:128 offset1:160
	ds_load_2addr_b64 v[8:11], v97 offset0:192 offset1:224
	ds_load_2addr_b64 v[58:61], v98 offset1:32
	ds_load_2addr_b64 v[20:23], v98 offset0:64 offset1:96
	ds_load_2addr_b64 v[62:65], v98 offset0:128 offset1:160
	;; [unrolled: 1-line block ×3, first 2 shown]
	s_wait_dscnt 0x0
	s_barrier_signal -1
	s_barrier_wait -1
	global_load_b128 v[66:69], v[66:67], off
	v_pk_fma_f16 v115, v25, v12, v115
	v_pk_fma_f16 v116, v26, v12, v116
	;; [unrolled: 1-line block ×3, first 2 shown]
	v_and_b32_e32 v123, 0xffff, v13
	v_and_b32_e32 v125, 0xffff, v14
	v_lshrrev_b32_e32 v126, 16, v14
	global_load_b128 v[12:15], v[100:101], off
	s_wait_xcnt 0x0
	v_mul_u32_u24_e32 v100, 0x10001, v136
	v_mul_u32_u24_e32 v101, 0x10001, v138
	v_pk_fma_f16 v99, v16, v24, v99
	v_pk_fma_f16 v108, v17, v24, v108
	;; [unrolled: 1-line block ×4, first 2 shown]
	global_load_b128 v[24:27], v[102:103], off
	v_pk_fma_f16 v106, v16, v100, v106
	v_pk_fma_f16 v119, v17, v100, v119
	;; [unrolled: 1-line block ×8, first 2 shown]
	global_load_b128 v[100:103], v[104:105], off
	s_wait_xcnt 0x0
	v_mul_u32_u24_e32 v104, 0x10001, v137
	v_mul_u32_u24_e32 v105, 0x10001, v139
	;; [unrolled: 1-line block ×5, first 2 shown]
	v_pk_fma_f16 v16, v16, v104, v113
	v_pk_fma_f16 v17, v17, v104, v115
	v_pk_fma_f16 v18, v18, v104, v116
	v_pk_fma_f16 v19, v19, v104, v112
	v_mul_u32_u24_e32 v132, 0x10001, v154
	v_mul_u32_u24_e32 v133, 0x10001, v155
	v_mul_u32_u24_e32 v134, 0x10001, v157
	v_mul_u32_u24_e32 v135, 0x10001, v156
	v_pk_fma_f16 v99, v54, v105, v99
	v_pk_fma_f16 v104, v55, v105, v108
	v_pk_fma_f16 v108, v56, v105, v109
	v_pk_fma_f16 v105, v57, v105, v114
	v_pk_fma_f16 v106, v54, v129, v106
	v_pk_fma_f16 v109, v55, v129, v119
	v_pk_fma_f16 v112, v56, v129, v120
	v_pk_fma_f16 v107, v57, v129, v107
	v_pk_fma_f16 v110, v54, v130, v110
	v_pk_fma_f16 v113, v55, v130, v117
	v_pk_fma_f16 v114, v56, v130, v122
	v_pk_fma_f16 v111, v57, v130, v111
	v_pk_fma_f16 v16, v54, v131, v16
	v_pk_fma_f16 v17, v55, v131, v17
	v_pk_fma_f16 v18, v56, v131, v18
	v_pk_fma_f16 v19, v57, v131, v19
	v_mul_u32_u24_e32 v136, 0x10001, v141
	v_mul_u32_u24_e32 v137, 0x10001, v142
	v_mul_u32_u24_e32 v138, 0x10001, v143
	v_mul_u32_u24_e32 v139, 0x10001, v144
	v_pk_fma_f16 v54, v8, v132, v99
	v_pk_fma_f16 v55, v9, v132, v104
	v_pk_fma_f16 v56, v10, v132, v108
	v_pk_fma_f16 v57, v11, v132, v105
	v_pk_fma_f16 v99, v8, v133, v106
	v_pk_fma_f16 v104, v9, v133, v109
	v_pk_fma_f16 v105, v10, v133, v112
	v_pk_fma_f16 v106, v11, v133, v107
	v_pk_fma_f16 v107, v8, v134, v110
	v_pk_fma_f16 v108, v9, v134, v113
	v_pk_fma_f16 v109, v10, v134, v114
	v_pk_fma_f16 v110, v11, v134, v111
	v_pk_fma_f16 v8, v8, v135, v16
	v_pk_fma_f16 v9, v9, v135, v17
	v_pk_fma_f16 v10, v10, v135, v18
	v_pk_fma_f16 v11, v11, v135, v19
	v_mul_u32_u24_e32 v140, 0x10001, v145
	v_mul_u32_u24_e32 v141, 0x10001, v146
	v_mul_u32_u24_e32 v142, 0x10001, v159
	v_mul_u32_u24_e32 v143, 0x10001, v158
	v_pk_fma_f16 v16, v58, v136, v54
	v_pk_fma_f16 v17, v59, v136, v55
	v_pk_fma_f16 v18, v60, v136, v56
	v_pk_fma_f16 v19, v61, v136, v57
	v_pk_fma_f16 v54, v58, v137, v99
	v_pk_fma_f16 v55, v59, v137, v104
	v_pk_fma_f16 v56, v60, v137, v105
	v_pk_fma_f16 v57, v61, v137, v106
	v_pk_fma_f16 v99, v58, v138, v107
	v_pk_fma_f16 v104, v59, v138, v108
	v_pk_fma_f16 v105, v60, v138, v109
	v_pk_fma_f16 v106, v61, v138, v110
	v_pk_fma_f16 v8, v58, v139, v8
	v_pk_fma_f16 v9, v59, v139, v9
	v_pk_fma_f16 v10, v60, v139, v10
	v_pk_fma_f16 v11, v61, v139, v11
	v_mul_u32_u24_e32 v118, 0x10001, v118
	v_mul_u32_u24_e32 v121, 0x10001, v121
	v_mul_u32_u24_e32 v123, 0x10001, v123
	v_mul_u32_u24_e32 v124, 0x10001, v124
	v_pk_fma_f16 v16, v20, v140, v16
	v_pk_fma_f16 v17, v21, v140, v17
	v_pk_fma_f16 v18, v22, v140, v18
	v_pk_fma_f16 v19, v23, v140, v19
	v_pk_fma_f16 v54, v20, v141, v54
	v_pk_fma_f16 v55, v21, v141, v55
	v_pk_fma_f16 v56, v22, v141, v56
	v_pk_fma_f16 v57, v23, v141, v57
	v_pk_fma_f16 v58, v20, v142, v99
	v_pk_fma_f16 v59, v21, v142, v104
	v_pk_fma_f16 v60, v22, v142, v105
	v_pk_fma_f16 v61, v23, v142, v106
	v_pk_fma_f16 v8, v20, v143, v8
	v_pk_fma_f16 v9, v21, v143, v9
	v_pk_fma_f16 v10, v22, v143, v10
	v_pk_fma_f16 v11, v23, v143, v11
	v_mul_u32_u24_e32 v125, 0x10001, v125
	v_mul_u32_u24_e32 v126, 0x10001, v126
	v_mul_u32_u24_e32 v128, 0x10001, v128
	v_mul_u32_u24_e32 v127, 0x10001, v127
	v_pk_fma_f16 v16, v62, v118, v16
	v_pk_fma_f16 v17, v63, v118, v17
	v_pk_fma_f16 v18, v64, v118, v18
	v_pk_fma_f16 v19, v65, v118, v19
	v_pk_fma_f16 v20, v62, v121, v54
	v_pk_fma_f16 v21, v63, v121, v55
	v_pk_fma_f16 v22, v64, v121, v56
	v_pk_fma_f16 v23, v65, v121, v57
	v_pk_fma_f16 v54, v62, v123, v58
	v_pk_fma_f16 v55, v63, v123, v59
	v_pk_fma_f16 v56, v64, v123, v60
	v_pk_fma_f16 v57, v65, v123, v61
	v_pk_fma_f16 v8, v62, v124, v8
	v_pk_fma_f16 v9, v63, v124, v9
	;; [unrolled: 1-line block ×20, first 2 shown]
	s_wait_loadcnt 0x3
	ds_store_b128 v86, v[66:69]
	s_wait_loadcnt 0x2
	ds_store_b128 v87, v[12:15]
	;; [unrolled: 2-line block ×4, first 2 shown]
	s_wait_dscnt 0x0
	s_barrier_signal -1
	s_barrier_wait -1
	ds_load_b128 v[4:7], v85 offset:512
	ds_load_b128 v[8:11], v85 offset:528
	;; [unrolled: 1-line block ×8, first 2 shown]
	s_wait_dscnt 0x7
	v_and_b32_e32 v66, 0xffff, v4
	v_dual_lshrrev_b32 v67, 16, v4 :: v_dual_lshrrev_b32 v69, 16, v5
	v_and_b32_e32 v68, 0xffff, v5
	v_and_b32_e32 v100, 0xffff, v6
	v_dual_lshrrev_b32 v101, 16, v6 :: v_dual_lshrrev_b32 v102, 16, v7
	v_and_b32_e32 v103, 0xffff, v7
	ds_load_2addr_b64 v[4:7], v91 offset1:32
	s_wait_dscnt 0x7
	v_and_b32_e32 v115, 0xffff, v8
	v_dual_lshrrev_b32 v116, 16, v8 :: v_dual_lshrrev_b32 v118, 16, v9
	v_and_b32_e32 v117, 0xffff, v9
	v_and_b32_e32 v119, 0xffff, v10
	v_dual_lshrrev_b32 v120, 16, v10 :: v_dual_lshrrev_b32 v121, 16, v11
	v_mul_u32_u24_e32 v8, 0x10001, v66
	v_mul_u32_u24_e32 v9, 0x10001, v67
	;; [unrolled: 1-line block ×3, first 2 shown]
	v_and_b32_e32 v122, 0xffff, v11
	s_wait_dscnt 0x6
	v_and_b32_e32 v123, 0xffff, v12
	v_dual_lshrrev_b32 v124, 16, v12 :: v_dual_lshrrev_b32 v126, 16, v13
	v_and_b32_e32 v125, 0xffff, v13
	v_and_b32_e32 v127, 0xffff, v14
	v_dual_lshrrev_b32 v128, 16, v14 :: v_dual_lshrrev_b32 v129, 16, v15
	v_and_b32_e32 v130, 0xffff, v15
	s_wait_dscnt 0x0
	v_pk_fma_f16 v12, v4, v8, v62
	v_pk_fma_f16 v13, v5, v8, v63
	;; [unrolled: 1-line block ×12, first 2 shown]
	ds_load_2addr_b64 v[8:11], v91 offset0:64 offset1:96
	v_mul_u32_u24_e32 v69, 0x10001, v69
	v_mul_u32_u24_e32 v101, 0x10001, v101
	;; [unrolled: 1-line block ×4, first 2 shown]
	v_and_b32_e32 v131, 0xffff, v16
	v_pk_fma_f16 v104, v4, v69, v111
	v_pk_fma_f16 v105, v5, v69, v112
	;; [unrolled: 1-line block ×4, first 2 shown]
	ds_load_b128 v[4:7], v85 offset:640
	v_lshrrev_b32_e32 v16, 16, v16
	v_and_b32_e32 v132, 0xffff, v17
	v_lshrrev_b32_e32 v17, 16, v17
	v_and_b32_e32 v133, 0xffff, v18
	v_dual_lshrrev_b32 v18, 16, v18 :: v_dual_lshrrev_b32 v134, 16, v19
	v_mul_u32_u24_e32 v16, 0x10001, v16
	s_delay_alu instid0(VALU_DEP_4)
	v_mul_u32_u24_e32 v17, 0x10001, v17
	v_and_b32_e32 v19, 0xffff, v19
	s_wait_dscnt 0x1
	v_pk_fma_f16 v62, v8, v101, v62
	v_pk_fma_f16 v63, v9, v101, v63
	;; [unrolled: 1-line block ×4, first 2 shown]
	v_mul_u32_u24_e32 v101, 0x10001, v102
	v_pk_fma_f16 v107, v8, v100, v12
	v_pk_fma_f16 v108, v9, v100, v13
	;; [unrolled: 1-line block ×8, first 2 shown]
	ds_load_b128 v[12:15], v85 offset:656
	v_pk_fma_f16 v8, v8, v101, v104
	v_pk_fma_f16 v9, v9, v101, v105
	;; [unrolled: 1-line block ×4, first 2 shown]
	s_wait_dscnt 0x1
	v_and_b32_e32 v69, 0xffff, v4
	v_dual_lshrrev_b32 v101, 16, v4 :: v_dual_lshrrev_b32 v106, 16, v5
	v_and_b32_e32 v102, 0xffff, v5
	v_and_b32_e32 v110, 0xffff, v6
	v_dual_lshrrev_b32 v111, 16, v6 :: v_dual_lshrrev_b32 v112, 16, v7
	v_and_b32_e32 v113, 0xffff, v7
	ds_load_2addr_b64 v[4:7], v91 offset0:128 offset1:160
	v_mul_u32_u24_e32 v103, 0x10001, v115
	v_and_b32_e32 v135, 0xffff, v20
	v_lshrrev_b32_e32 v20, 16, v20
	v_and_b32_e32 v136, 0xffff, v21
	v_lshrrev_b32_e32 v21, 16, v21
	v_and_b32_e32 v137, 0xffff, v22
	s_wait_dscnt 0x1
	v_and_b32_e32 v114, 0xffff, v13
	v_lshrrev_b32_e32 v115, 16, v13
	v_and_b32_e32 v151, 0xffff, v15
	v_mul_u32_u24_e32 v21, 0x10001, v21
	v_dual_lshrrev_b32 v22, 16, v22 :: v_dual_lshrrev_b32 v138, 16, v23
	v_and_b32_e32 v23, 0xffff, v23
	v_and_b32_e32 v139, 0xffff, v24
	v_lshrrev_b32_e32 v24, 16, v24
	s_delay_alu instid0(VALU_DEP_4)
	v_mul_u32_u24_e32 v22, 0x10001, v22
	v_and_b32_e32 v140, 0xffff, v25
	v_mul_u32_u24_e32 v23, 0x10001, v23
	v_lshrrev_b32_e32 v25, 16, v25
	s_wait_dscnt 0x0
	v_pk_fma_f16 v104, v4, v103, v107
	v_pk_fma_f16 v105, v5, v103, v108
	;; [unrolled: 1-line block ×4, first 2 shown]
	v_mul_u32_u24_e32 v103, 0x10001, v116
	v_and_b32_e32 v108, 0xffff, v12
	v_lshrrev_b32_e32 v109, 16, v12
	v_mul_u32_u24_e32 v12, 0x10001, v119
	v_and_b32_e32 v116, 0xffff, v14
	v_pk_fma_f16 v62, v4, v103, v62
	v_pk_fma_f16 v63, v5, v103, v63
	;; [unrolled: 1-line block ×4, first 2 shown]
	v_mul_u32_u24_e32 v103, 0x10001, v117
	v_lshrrev_b32_e32 v117, 16, v14
	v_mul_u32_u24_e32 v119, 0x10001, v128
	v_mul_u32_u24_e32 v24, 0x10001, v24
	v_and_b32_e32 v141, 0xffff, v26
	v_pk_fma_f16 v66, v4, v103, v66
	v_pk_fma_f16 v67, v5, v103, v67
	;; [unrolled: 1-line block ×4, first 2 shown]
	v_mul_u32_u24_e32 v103, 0x10001, v118
	v_dual_lshrrev_b32 v118, 16, v15 :: v_dual_lshrrev_b32 v26, 16, v26
	v_lshrrev_b32_e32 v142, 16, v27
	v_and_b32_e32 v27, 0xffff, v27
	s_delay_alu instid0(VALU_DEP_4)
	v_pk_fma_f16 v8, v4, v103, v8
	v_pk_fma_f16 v9, v5, v103, v9
	;; [unrolled: 1-line block ×4, first 2 shown]
	ds_load_2addr_b64 v[4:7], v91 offset0:192 offset1:224
	v_and_b32_e32 v143, 0xffff, v54
	v_lshrrev_b32_e32 v54, 16, v54
	v_and_b32_e32 v144, 0xffff, v55
	v_lshrrev_b32_e32 v55, 16, v55
	v_and_b32_e32 v145, 0xffff, v56
	v_dual_lshrrev_b32 v56, 16, v56 :: v_dual_lshrrev_b32 v146, 16, v57
	v_and_b32_e32 v57, 0xffff, v57
	v_and_b32_e32 v147, 0xffff, v58
	v_lshrrev_b32_e32 v58, 16, v58
	v_and_b32_e32 v148, 0xffff, v59
	v_lshrrev_b32_e32 v59, 16, v59
	v_and_b32_e32 v149, 0xffff, v60
	v_dual_lshrrev_b32 v60, 16, v60 :: v_dual_lshrrev_b32 v150, 16, v61
	v_and_b32_e32 v61, 0xffff, v61
	s_wait_dscnt 0x0
	v_pk_fma_f16 v13, v4, v12, v104
	v_pk_fma_f16 v14, v5, v12, v105
	;; [unrolled: 1-line block ×4, first 2 shown]
	v_mul_u32_u24_e32 v100, 0x10001, v120
	v_mul_u32_u24_e32 v107, 0x10001, v126
	;; [unrolled: 1-line block ×3, first 2 shown]
	s_delay_alu instid0(VALU_DEP_3) | instskip(SKIP_4) | instid1(VALU_DEP_1)
	v_pk_fma_f16 v62, v4, v100, v62
	v_pk_fma_f16 v63, v5, v100, v63
	;; [unrolled: 1-line block ×4, first 2 shown]
	v_mul_u32_u24_e32 v100, 0x10001, v122
	v_pk_fma_f16 v66, v4, v100, v66
	v_pk_fma_f16 v67, v5, v100, v67
	;; [unrolled: 1-line block ×4, first 2 shown]
	v_mul_u32_u24_e32 v100, 0x10001, v121
	s_delay_alu instid0(VALU_DEP_1)
	v_pk_fma_f16 v103, v4, v100, v8
	v_pk_fma_f16 v104, v5, v100, v9
	;; [unrolled: 1-line block ×4, first 2 shown]
	ds_load_2addr_b64 v[4:7], v92 offset1:32
	v_mul_u32_u24_e32 v8, 0x10001, v123
	v_mul_u32_u24_e32 v9, 0x10001, v124
	;; [unrolled: 1-line block ×3, first 2 shown]
	s_wait_dscnt 0x0
	s_delay_alu instid0(VALU_DEP_3)
	v_pk_fma_f16 v13, v4, v8, v13
	v_pk_fma_f16 v14, v5, v8, v14
	;; [unrolled: 1-line block ×12, first 2 shown]
	ds_load_2addr_b64 v[8:11], v92 offset0:64 offset1:96
	v_pk_fma_f16 v103, v4, v107, v103
	v_pk_fma_f16 v104, v5, v107, v104
	;; [unrolled: 1-line block ×4, first 2 shown]
	ds_load_b128 v[4:7], v85 offset:672
	v_mul_u32_u24_e32 v107, 0x10001, v127
	s_wait_dscnt 0x1
	v_pk_fma_f16 v62, v8, v119, v62
	v_pk_fma_f16 v63, v9, v119, v63
	;; [unrolled: 1-line block ×4, first 2 shown]
	v_mul_u32_u24_e32 v119, 0x10001, v129
	v_pk_fma_f16 v121, v8, v107, v13
	v_pk_fma_f16 v122, v9, v107, v14
	;; [unrolled: 1-line block ×8, first 2 shown]
	ds_load_b128 v[12:15], v85 offset:688
	v_pk_fma_f16 v8, v8, v119, v103
	v_pk_fma_f16 v9, v9, v119, v104
	;; [unrolled: 1-line block ×4, first 2 shown]
	s_wait_dscnt 0x1
	v_and_b32_e32 v119, 0xffff, v4
	v_dual_lshrrev_b32 v120, 16, v4 :: v_dual_lshrrev_b32 v125, 16, v5
	v_and_b32_e32 v124, 0xffff, v5
	v_and_b32_e32 v126, 0xffff, v6
	v_dual_lshrrev_b32 v127, 16, v6 :: v_dual_lshrrev_b32 v128, 16, v7
	v_and_b32_e32 v129, 0xffff, v7
	ds_load_2addr_b64 v[4:7], v92 offset0:128 offset1:160
	v_mul_u32_u24_e32 v100, 0x10001, v131
	s_wait_dscnt 0x1
	v_dual_lshrrev_b32 v130, 16, v14 :: v_dual_lshrrev_b32 v131, 16, v15
	s_wait_dscnt 0x0
	v_pk_fma_f16 v62, v4, v16, v62
	v_pk_fma_f16 v63, v5, v16, v63
	;; [unrolled: 1-line block ×4, first 2 shown]
	v_mul_u32_u24_e32 v65, 0x10001, v132
	v_pk_fma_f16 v103, v4, v100, v121
	v_pk_fma_f16 v104, v5, v100, v122
	;; [unrolled: 1-line block ×12, first 2 shown]
	ds_load_2addr_b64 v[4:7], v92 offset0:192 offset1:224
	v_mul_u32_u24_e32 v17, 0x10001, v18
	v_and_b32_e32 v99, 0xffff, v12
	v_dual_lshrrev_b32 v107, 16, v12 :: v_dual_lshrrev_b32 v122, 16, v13
	v_mul_u32_u24_e32 v12, 0x10001, v133
	v_and_b32_e32 v121, 0xffff, v13
	v_and_b32_e32 v123, 0xffff, v14
	;; [unrolled: 1-line block ×3, first 2 shown]
	s_wait_dscnt 0x0
	v_pk_fma_f16 v18, v4, v17, v62
	v_pk_fma_f16 v62, v5, v17, v63
	;; [unrolled: 1-line block ×4, first 2 shown]
	v_mul_u32_u24_e32 v17, 0x10001, v19
	v_pk_fma_f16 v13, v4, v12, v103
	v_pk_fma_f16 v14, v5, v12, v104
	;; [unrolled: 1-line block ×8, first 2 shown]
	v_mul_u32_u24_e32 v65, 0x10001, v134
	s_delay_alu instid0(VALU_DEP_1)
	v_pk_fma_f16 v67, v4, v65, v8
	v_pk_fma_f16 v68, v5, v65, v9
	;; [unrolled: 1-line block ×4, first 2 shown]
	ds_load_2addr_b64 v[4:7], v93 offset1:32
	v_mul_u32_u24_e32 v8, 0x10001, v135
	v_mul_u32_u24_e32 v9, 0x10001, v20
	;; [unrolled: 1-line block ×3, first 2 shown]
	s_wait_dscnt 0x0
	s_delay_alu instid0(VALU_DEP_3)
	v_pk_fma_f16 v13, v4, v8, v13
	v_pk_fma_f16 v14, v5, v8, v14
	;; [unrolled: 1-line block ×12, first 2 shown]
	ds_load_2addr_b64 v[8:11], v93 offset0:64 offset1:96
	v_pk_fma_f16 v66, v4, v21, v67
	v_pk_fma_f16 v67, v5, v21, v68
	;; [unrolled: 1-line block ×4, first 2 shown]
	ds_load_b128 v[4:7], v85 offset:704
	v_mul_u32_u24_e32 v65, 0x10001, v137
	s_wait_dscnt 0x1
	v_pk_fma_f16 v18, v8, v22, v18
	v_pk_fma_f16 v20, v9, v22, v20
	;; [unrolled: 1-line block ×8, first 2 shown]
	v_mul_u32_u24_e32 v23, 0x10001, v138
	v_pk_fma_f16 v100, v8, v65, v13
	v_pk_fma_f16 v103, v9, v65, v14
	;; [unrolled: 1-line block ×4, first 2 shown]
	ds_load_b128 v[12:15], v85 offset:720
	v_pk_fma_f16 v10, v10, v23, v68
	s_wait_dscnt 0x1
	v_and_b32_e32 v68, 0xffff, v4
	v_dual_lshrrev_b32 v133, 16, v4 :: v_dual_lshrrev_b32 v135, 16, v5
	v_and_b32_e32 v134, 0xffff, v5
	v_and_b32_e32 v136, 0xffff, v6
	v_dual_lshrrev_b32 v137, 16, v6 :: v_dual_lshrrev_b32 v138, 16, v7
	v_and_b32_e32 v152, 0xffff, v7
	ds_load_2addr_b64 v[4:7], v93 offset0:128 offset1:160
	v_pk_fma_f16 v8, v8, v23, v66
	v_pk_fma_f16 v9, v9, v23, v67
	;; [unrolled: 1-line block ×3, first 2 shown]
	v_mul_u32_u24_e32 v21, 0x10001, v139
	v_mul_u32_u24_e32 v68, 0x10001, v68
	s_wait_dscnt 0x1
	v_and_b32_e32 v139, 0xffff, v12
	v_and_b32_e32 v153, 0xffff, v13
	v_lshrrev_b32_e32 v154, 16, v13
	v_and_b32_e32 v155, 0xffff, v14
	v_dual_lshrrev_b32 v156, 16, v14 :: v_dual_lshrrev_b32 v157, 16, v15
	v_and_b32_e32 v158, 0xffff, v15
	s_wait_dscnt 0x0
	v_pk_fma_f16 v18, v4, v24, v18
	v_pk_fma_f16 v20, v5, v24, v20
	;; [unrolled: 1-line block ×4, first 2 shown]
	v_mul_u32_u24_e32 v24, 0x10001, v140
	v_pk_fma_f16 v23, v4, v21, v100
	v_pk_fma_f16 v64, v5, v21, v103
	;; [unrolled: 1-line block ×8, first 2 shown]
	v_mul_u32_u24_e32 v24, 0x10001, v25
	v_lshrrev_b32_e32 v140, 16, v12
	v_mul_u32_u24_e32 v12, 0x10001, v141
	s_delay_alu instid0(VALU_DEP_3)
	v_pk_fma_f16 v8, v4, v24, v8
	v_pk_fma_f16 v9, v5, v24, v9
	;; [unrolled: 1-line block ×4, first 2 shown]
	ds_load_2addr_b64 v[4:7], v93 offset0:192 offset1:224
	s_wait_dscnt 0x0
	v_pk_fma_f16 v13, v4, v12, v23
	v_pk_fma_f16 v14, v5, v12, v64
	;; [unrolled: 1-line block ×4, first 2 shown]
	v_mul_u32_u24_e32 v21, 0x10001, v26
	v_mul_u32_u24_e32 v64, 0x10001, v151
	s_delay_alu instid0(VALU_DEP_2) | instskip(SKIP_4) | instid1(VALU_DEP_1)
	v_pk_fma_f16 v18, v4, v21, v18
	v_pk_fma_f16 v20, v5, v21, v20
	;; [unrolled: 1-line block ×4, first 2 shown]
	v_mul_u32_u24_e32 v21, 0x10001, v27
	v_pk_fma_f16 v19, v4, v21, v19
	v_pk_fma_f16 v22, v5, v21, v22
	;; [unrolled: 1-line block ×4, first 2 shown]
	v_mul_u32_u24_e32 v21, 0x10001, v142
	s_delay_alu instid0(VALU_DEP_1)
	v_pk_fma_f16 v25, v4, v21, v8
	v_pk_fma_f16 v26, v5, v21, v9
	;; [unrolled: 1-line block ×4, first 2 shown]
	ds_load_2addr_b64 v[4:7], v94 offset1:32
	v_mul_u32_u24_e32 v8, 0x10001, v143
	v_mul_u32_u24_e32 v9, 0x10001, v54
	;; [unrolled: 1-line block ×6, first 2 shown]
	s_wait_dscnt 0x0
	v_pk_fma_f16 v13, v4, v8, v13
	v_pk_fma_f16 v14, v5, v8, v14
	;; [unrolled: 1-line block ×12, first 2 shown]
	ds_load_2addr_b64 v[8:11], v94 offset0:64 offset1:96
	v_pk_fma_f16 v25, v4, v54, v25
	v_pk_fma_f16 v26, v5, v54, v26
	;; [unrolled: 1-line block ×4, first 2 shown]
	ds_load_b128 v[4:7], v85 offset:736
	v_mul_u32_u24_e32 v54, 0x10001, v145
	s_wait_dscnt 0x1
	s_delay_alu instid0(VALU_DEP_1)
	v_pk_fma_f16 v57, v8, v54, v13
	v_pk_fma_f16 v62, v9, v54, v14
	;; [unrolled: 1-line block ×8, first 2 shown]
	ds_load_b128 v[12:15], v85 offset:752
	v_mul_u32_u24_e32 v55, 0x10001, v146
	s_wait_dscnt 0x1
	v_and_b32_e32 v141, 0xffff, v4
	v_dual_lshrrev_b32 v142, 16, v4 :: v_dual_lshrrev_b32 v144, 16, v5
	v_and_b32_e32 v143, 0xffff, v5
	v_and_b32_e32 v145, 0xffff, v6
	v_dual_lshrrev_b32 v146, 16, v6 :: v_dual_lshrrev_b32 v159, 16, v7
	v_and_b32_e32 v160, 0xffff, v7
	ds_load_2addr_b64 v[4:7], v94 offset0:128 offset1:160
	v_pk_fma_f16 v17, v11, v56, v17
	v_pk_fma_f16 v11, v11, v55, v21
	v_mul_u32_u24_e32 v21, 0x10001, v147
	v_pk_fma_f16 v19, v8, v56, v19
	v_pk_fma_f16 v22, v9, v56, v22
	;; [unrolled: 1-line block ×6, first 2 shown]
	s_wait_dscnt 0x0
	v_pk_fma_f16 v25, v4, v21, v57
	v_pk_fma_f16 v26, v5, v21, v62
	;; [unrolled: 1-line block ×4, first 2 shown]
	v_mul_u32_u24_e32 v54, 0x10001, v58
	v_mul_u32_u24_e32 v63, 0x10001, v117
	s_delay_alu instid0(VALU_DEP_2) | instskip(SKIP_4) | instid1(VALU_DEP_1)
	v_pk_fma_f16 v18, v4, v54, v18
	v_pk_fma_f16 v20, v5, v54, v20
	v_pk_fma_f16 v23, v6, v54, v23
	v_pk_fma_f16 v16, v7, v54, v16
	v_mul_u32_u24_e32 v54, 0x10001, v148
	v_pk_fma_f16 v19, v4, v54, v19
	v_pk_fma_f16 v22, v5, v54, v22
	;; [unrolled: 1-line block ×4, first 2 shown]
	v_mul_u32_u24_e32 v54, 0x10001, v59
	s_delay_alu instid0(VALU_DEP_1)
	v_pk_fma_f16 v55, v4, v54, v8
	v_pk_fma_f16 v56, v5, v54, v9
	;; [unrolled: 1-line block ×4, first 2 shown]
	ds_load_2addr_b64 v[4:7], v94 offset0:192 offset1:224
	v_mul_u32_u24_e32 v10, 0x10001, v60
	v_mul_u32_u24_e32 v8, 0x10001, v149
	;; [unrolled: 1-line block ×5, first 2 shown]
	s_wait_dscnt 0x0
	v_pk_fma_f16 v58, v7, v10, v16
	v_mul_u32_u24_e32 v16, 0x10001, v150
	v_pk_fma_f16 v25, v4, v8, v25
	v_pk_fma_f16 v26, v5, v8, v26
	;; [unrolled: 1-line block ×15, first 2 shown]
	ds_load_2addr_b64 v[4:7], v95 offset1:32
	v_add_nc_u64_e32 v[8:9], s[2:3], v[46:47]
	v_mul_u32_u24_e32 v16, 0x10001, v69
	v_add_nc_u64_e32 v[10:11], s[2:3], v[48:49]
	s_delay_alu instid0(VALU_DEP_3) | instskip(SKIP_1) | instid1(VALU_DEP_3)
	v_add_nc_u64_e32 v[66:67], v[8:9], v[44:45]
	v_mul_u32_u24_e32 v8, 0x10001, v106
	v_add_nc_u64_e32 v[100:101], v[10:11], v[44:45]
	v_mul_u32_u24_e32 v9, 0x10001, v111
	v_mul_u32_u24_e32 v10, 0x10001, v113
	;; [unrolled: 1-line block ×3, first 2 shown]
	s_wait_dscnt 0x0
	v_pk_fma_f16 v25, v4, v16, v25
	v_pk_fma_f16 v26, v5, v16, v26
	;; [unrolled: 1-line block ×4, first 2 shown]
	v_add_nc_u64_e32 v[16:17], s[2:3], v[50:51]
	v_pk_fma_f16 v62, v4, v60, v18
	v_pk_fma_f16 v20, v5, v60, v20
	v_pk_fma_f16 v23, v6, v60, v23
	v_pk_fma_f16 v58, v7, v60, v58
	v_pk_fma_f16 v60, v4, v61, v19
	v_add_nc_u64_e32 v[18:19], s[2:3], v[52:53]
	v_pk_fma_f16 v22, v5, v61, v22
	v_pk_fma_f16 v24, v6, v61, v24
	;; [unrolled: 1-line block ×3, first 2 shown]
	v_add_nc_u64_e32 v[102:103], v[16:17], v[44:45]
	v_pk_fma_f16 v16, v4, v8, v55
	v_pk_fma_f16 v17, v5, v8, v56
	v_add_nc_u64_e32 v[104:105], v[18:19], v[44:45]
	v_pk_fma_f16 v18, v6, v8, v57
	v_pk_fma_f16 v19, v7, v8, v54
	ds_load_2addr_b64 v[4:7], v95 offset0:64 offset1:96
	v_mul_u32_u24_e32 v8, 0x10001, v110
	s_wait_dscnt 0x0
	s_delay_alu instid0(VALU_DEP_1)
	v_pk_fma_f16 v25, v4, v8, v25
	v_pk_fma_f16 v26, v5, v8, v26
	;; [unrolled: 1-line block ×12, first 2 shown]
	ds_load_2addr_b64 v[8:11], v95 offset0:128 offset1:160
	v_mul_u32_u24_e32 v58, 0x10001, v112
	v_mul_u32_u24_e32 v62, 0x10001, v115
	;; [unrolled: 1-line block ×5, first 2 shown]
	v_pk_fma_f16 v59, v4, v58, v16
	v_pk_fma_f16 v60, v5, v58, v17
	v_pk_fma_f16 v61, v6, v58, v18
	v_pk_fma_f16 v58, v7, v58, v19
	ds_load_2addr_b64 v[4:7], v95 offset0:192 offset1:224
	v_mul_u32_u24_e32 v16, 0x10001, v108
	v_mul_u32_u24_e32 v17, 0x10001, v109
	;; [unrolled: 1-line block ×5, first 2 shown]
	v_lshrrev_b32_e32 v124, 16, v13
	v_and_b32_e32 v128, 0xffff, v15
	s_wait_dscnt 0x1
	v_pk_fma_f16 v25, v8, v16, v25
	v_pk_fma_f16 v26, v9, v16, v26
	;; [unrolled: 1-line block ×12, first 2 shown]
	ds_load_2addr_b64 v[16:19], v96 offset1:32
	v_pk_fma_f16 v59, v8, v62, v59
	v_pk_fma_f16 v60, v9, v62, v60
	;; [unrolled: 1-line block ×4, first 2 shown]
	ds_load_2addr_b64 v[8:11], v96 offset0:64 offset1:96
	v_mul_u32_u24_e32 v62, 0x10001, v116
	s_wait_dscnt 0x2
	v_pk_fma_f16 v54, v4, v63, v54
	v_pk_fma_f16 v65, v5, v63, v20
	;; [unrolled: 1-line block ×8, first 2 shown]
	v_mul_u32_u24_e32 v64, 0x10001, v118
	v_pk_fma_f16 v25, v4, v62, v25
	v_pk_fma_f16 v26, v5, v62, v26
	;; [unrolled: 1-line block ×4, first 2 shown]
	ds_load_2addr_b64 v[20:23], v96 offset0:128 offset1:160
	v_pk_fma_f16 v59, v4, v64, v59
	v_pk_fma_f16 v60, v5, v64, v60
	;; [unrolled: 1-line block ×4, first 2 shown]
	v_mul_u32_u24_e32 v64, 0x10001, v119
	s_wait_dscnt 0x2
	v_pk_fma_f16 v54, v16, v106, v54
	v_pk_fma_f16 v55, v19, v106, v55
	ds_load_2addr_b64 v[4:7], v96 offset0:192 offset1:224
	v_pk_fma_f16 v56, v16, v108, v56
	v_pk_fma_f16 v109, v16, v64, v25
	v_pk_fma_f16 v110, v17, v64, v26
	v_pk_fma_f16 v111, v18, v64, v27
	v_pk_fma_f16 v62, v19, v64, v62
	v_pk_fma_f16 v64, v17, v106, v65
	v_pk_fma_f16 v65, v18, v106, v69
	v_mul_u32_u24_e32 v106, 0x10001, v125
	v_pk_fma_f16 v63, v17, v108, v63
	v_pk_fma_f16 v69, v18, v108, v24
	;; [unrolled: 1-line block ×3, first 2 shown]
	ds_load_2addr_b64 v[24:27], v97 offset1:32
	v_pk_fma_f16 v59, v16, v106, v59
	v_pk_fma_f16 v60, v17, v106, v60
	v_pk_fma_f16 v61, v18, v106, v61
	v_pk_fma_f16 v58, v19, v106, v58
	v_mul_u32_u24_e32 v106, 0x10001, v126
	v_mul_u32_u24_e32 v108, 0x10001, v127
	s_wait_dscnt 0x3
	v_pk_fma_f16 v113, v8, v112, v56
	v_pk_fma_f16 v63, v9, v112, v63
	;; [unrolled: 1-line block ×10, first 2 shown]
	v_mul_u32_u24_e32 v58, 0x10001, v99
	v_mul_u32_u24_e32 v60, 0x10001, v121
	v_pk_fma_f16 v110, v9, v106, v110
	v_pk_fma_f16 v62, v11, v106, v62
	;; [unrolled: 1-line block ×6, first 2 shown]
	v_mul_u32_u24_e32 v59, 0x10001, v107
	s_wait_dscnt 0x2
	v_pk_fma_f16 v99, v20, v58, v109
	v_pk_fma_f16 v109, v22, v58, v111
	;; [unrolled: 1-line block ×3, first 2 shown]
	v_mul_u32_u24_e32 v112, 0x10001, v122
	ds_load_2addr_b64 v[16:19], v97 offset0:64 offset1:96
	v_pk_fma_f16 v107, v21, v58, v110
	v_pk_fma_f16 v106, v20, v59, v106
	;; [unrolled: 1-line block ×11, first 2 shown]
	v_mul_u32_u24_e32 v117, 0x10001, v130
	v_mul_u32_u24_e32 v118, 0x10001, v132
	v_pk_fma_f16 v62, v23, v58, v62
	v_pk_fma_f16 v112, v23, v112, v114
	v_mul_u32_u24_e32 v114, 0x10001, v123
	s_wait_dscnt 0x2
	v_pk_fma_f16 v106, v4, v117, v106
	v_pk_fma_f16 v119, v5, v117, v64
	;; [unrolled: 1-line block ×8, first 2 shown]
	v_mul_u32_u24_e32 v69, 0x10001, v131
	v_mul_u32_u24_e32 v118, 0x10001, v133
	v_mul_u32_u24_e32 v122, 0x10001, v134
	v_pk_fma_f16 v99, v4, v114, v99
	v_pk_fma_f16 v107, v5, v114, v107
	;; [unrolled: 1-line block ×5, first 2 shown]
	s_wait_dscnt 0x1
	v_pk_fma_f16 v106, v24, v118, v106
	v_pk_fma_f16 v119, v25, v118, v119
	;; [unrolled: 1-line block ×4, first 2 shown]
	v_and_b32_e32 v118, 0xffff, v12
	v_pk_fma_f16 v110, v24, v122, v110
	v_pk_fma_f16 v117, v25, v122, v117
	;; [unrolled: 1-line block ×4, first 2 shown]
	v_lshrrev_b32_e32 v122, 16, v12
	v_mul_u32_u24_e32 v12, 0x10001, v135
	v_pk_fma_f16 v115, v5, v69, v115
	v_pk_fma_f16 v116, v6, v69, v116
	;; [unrolled: 1-line block ×8, first 2 shown]
	v_mul_u32_u24_e32 v24, 0x10001, v136
	ds_load_2addr_b64 v[54:57], v97 offset0:128 offset1:160
	ds_load_2addr_b64 v[8:11], v97 offset0:192 offset1:224
	ds_load_2addr_b64 v[58:61], v98 offset1:32
	ds_load_2addr_b64 v[20:23], v98 offset0:64 offset1:96
	ds_load_2addr_b64 v[62:65], v98 offset0:128 offset1:160
	;; [unrolled: 1-line block ×3, first 2 shown]
	s_wait_dscnt 0x0
	s_barrier_signal -1
	s_barrier_wait -1
	global_load_b128 v[66:69], v[66:67], off
	v_pk_fma_f16 v115, v25, v12, v115
	v_pk_fma_f16 v116, v26, v12, v116
	;; [unrolled: 1-line block ×3, first 2 shown]
	v_and_b32_e32 v123, 0xffff, v13
	v_and_b32_e32 v125, 0xffff, v14
	v_dual_lshrrev_b32 v126, 16, v14 :: v_dual_lshrrev_b32 v127, 16, v15
	global_load_b128 v[12:15], v[100:101], off
	s_wait_xcnt 0x0
	v_mul_u32_u24_e32 v100, 0x10001, v137
	v_mul_u32_u24_e32 v101, 0x10001, v152
	v_pk_fma_f16 v99, v16, v24, v99
	v_pk_fma_f16 v107, v17, v24, v107
	;; [unrolled: 1-line block ×4, first 2 shown]
	global_load_b128 v[24:27], v[102:103], off
	v_pk_fma_f16 v106, v16, v100, v106
	v_pk_fma_f16 v119, v17, v100, v119
	;; [unrolled: 1-line block ×8, first 2 shown]
	global_load_b128 v[100:103], v[104:105], off
	s_wait_xcnt 0x0
	v_mul_u32_u24_e32 v104, 0x10001, v138
	v_mul_u32_u24_e32 v105, 0x10001, v139
	v_mul_u32_u24_e32 v130, 0x10001, v153
	v_mul_u32_u24_e32 v131, 0x10001, v154
	v_mul_u32_u24_e32 v132, 0x10001, v155
	v_pk_fma_f16 v16, v16, v104, v113
	v_pk_fma_f16 v17, v17, v104, v115
	;; [unrolled: 1-line block ×4, first 2 shown]
	v_mul_u32_u24_e32 v133, 0x10001, v156
	v_mul_u32_u24_e32 v134, 0x10001, v158
	v_mul_u32_u24_e32 v135, 0x10001, v157
	v_pk_fma_f16 v99, v54, v105, v99
	v_pk_fma_f16 v104, v55, v105, v107
	;; [unrolled: 1-line block ×16, first 2 shown]
	v_mul_u32_u24_e32 v136, 0x10001, v141
	v_mul_u32_u24_e32 v137, 0x10001, v142
	;; [unrolled: 1-line block ×4, first 2 shown]
	v_pk_fma_f16 v54, v8, v132, v99
	v_pk_fma_f16 v55, v9, v132, v104
	;; [unrolled: 1-line block ×16, first 2 shown]
	v_mul_u32_u24_e32 v141, 0x10001, v146
	v_mul_u32_u24_e32 v142, 0x10001, v160
	;; [unrolled: 1-line block ×3, first 2 shown]
	v_pk_fma_f16 v16, v58, v136, v54
	v_pk_fma_f16 v17, v59, v136, v55
	;; [unrolled: 1-line block ×16, first 2 shown]
	v_mul_u32_u24_e32 v118, 0x10001, v118
	v_mul_u32_u24_e32 v122, 0x10001, v122
	;; [unrolled: 1-line block ×4, first 2 shown]
	v_pk_fma_f16 v16, v20, v140, v16
	v_pk_fma_f16 v17, v21, v140, v17
	;; [unrolled: 1-line block ×16, first 2 shown]
	v_mul_u32_u24_e32 v125, 0x10001, v125
	v_mul_u32_u24_e32 v126, 0x10001, v126
	;; [unrolled: 1-line block ×4, first 2 shown]
	v_pk_fma_f16 v16, v62, v118, v16
	v_pk_fma_f16 v17, v63, v118, v17
	;; [unrolled: 1-line block ×32, first 2 shown]
	s_wait_loadcnt 0x3
	ds_store_b128 v86, v[66:69]
	s_wait_loadcnt 0x2
	ds_store_b128 v87, v[12:15]
	;; [unrolled: 2-line block ×4, first 2 shown]
	s_wait_dscnt 0x0
	s_barrier_signal -1
	s_barrier_wait -1
	ds_load_b128 v[4:7], v85 offset:768
	ds_load_b128 v[8:11], v85 offset:784
	;; [unrolled: 1-line block ×8, first 2 shown]
	s_wait_dscnt 0x7
	v_and_b32_e32 v66, 0xffff, v4
	v_dual_lshrrev_b32 v67, 16, v4 :: v_dual_lshrrev_b32 v69, 16, v5
	v_and_b32_e32 v68, 0xffff, v5
	v_and_b32_e32 v100, 0xffff, v6
	v_dual_lshrrev_b32 v101, 16, v6 :: v_dual_lshrrev_b32 v102, 16, v7
	v_and_b32_e32 v103, 0xffff, v7
	ds_load_2addr_b64 v[4:7], v91 offset1:32
	s_wait_dscnt 0x7
	v_and_b32_e32 v115, 0xffff, v8
	v_dual_lshrrev_b32 v116, 16, v8 :: v_dual_lshrrev_b32 v118, 16, v9
	v_and_b32_e32 v117, 0xffff, v9
	v_and_b32_e32 v119, 0xffff, v10
	v_dual_lshrrev_b32 v120, 16, v10 :: v_dual_lshrrev_b32 v121, 16, v11
	v_mul_u32_u24_e32 v8, 0x10001, v66
	v_mul_u32_u24_e32 v9, 0x10001, v67
	;; [unrolled: 1-line block ×3, first 2 shown]
	v_and_b32_e32 v122, 0xffff, v11
	s_wait_dscnt 0x6
	v_and_b32_e32 v123, 0xffff, v12
	v_dual_lshrrev_b32 v124, 16, v12 :: v_dual_lshrrev_b32 v126, 16, v13
	v_and_b32_e32 v125, 0xffff, v13
	v_and_b32_e32 v127, 0xffff, v14
	v_dual_lshrrev_b32 v128, 16, v14 :: v_dual_lshrrev_b32 v129, 16, v15
	v_and_b32_e32 v130, 0xffff, v15
	s_wait_dscnt 0x0
	v_pk_fma_f16 v12, v4, v8, v62
	v_pk_fma_f16 v13, v5, v8, v63
	;; [unrolled: 1-line block ×12, first 2 shown]
	ds_load_2addr_b64 v[8:11], v91 offset0:64 offset1:96
	v_mul_u32_u24_e32 v69, 0x10001, v69
	v_mul_u32_u24_e32 v101, 0x10001, v101
	;; [unrolled: 1-line block ×4, first 2 shown]
	v_and_b32_e32 v131, 0xffff, v16
	v_pk_fma_f16 v104, v4, v69, v111
	v_pk_fma_f16 v105, v5, v69, v112
	;; [unrolled: 1-line block ×4, first 2 shown]
	ds_load_b128 v[4:7], v85 offset:896
	v_mul_u32_u24_e32 v111, 0x10001, v115
	v_lshrrev_b32_e32 v16, 16, v16
	v_and_b32_e32 v132, 0xffff, v17
	v_lshrrev_b32_e32 v17, 16, v17
	v_and_b32_e32 v133, 0xffff, v18
	v_dual_lshrrev_b32 v18, 16, v18 :: v_dual_lshrrev_b32 v134, 16, v19
	v_mul_u32_u24_e32 v16, 0x10001, v16
	s_delay_alu instid0(VALU_DEP_4)
	v_mul_u32_u24_e32 v17, 0x10001, v17
	s_wait_dscnt 0x1
	v_pk_fma_f16 v62, v8, v101, v62
	v_pk_fma_f16 v63, v9, v101, v63
	;; [unrolled: 1-line block ×4, first 2 shown]
	v_mul_u32_u24_e32 v101, 0x10001, v102
	v_pk_fma_f16 v107, v8, v100, v12
	v_pk_fma_f16 v108, v9, v100, v13
	;; [unrolled: 1-line block ×8, first 2 shown]
	ds_load_b128 v[12:15], v85 offset:912
	v_pk_fma_f16 v8, v8, v101, v104
	v_pk_fma_f16 v9, v9, v101, v105
	v_pk_fma_f16 v10, v10, v101, v106
	v_pk_fma_f16 v11, v11, v101, v69
	s_wait_dscnt 0x1
	v_and_b32_e32 v69, 0xffff, v4
	v_dual_lshrrev_b32 v101, 16, v4 :: v_dual_lshrrev_b32 v103, 16, v5
	v_and_b32_e32 v102, 0xffff, v5
	v_and_b32_e32 v104, 0xffff, v6
	v_dual_lshrrev_b32 v105, 16, v6 :: v_dual_lshrrev_b32 v106, 16, v7
	v_and_b32_e32 v110, 0xffff, v7
	ds_load_2addr_b64 v[4:7], v91 offset0:128 offset1:160
	v_and_b32_e32 v19, 0xffff, v19
	v_and_b32_e32 v135, 0xffff, v20
	v_lshrrev_b32_e32 v20, 16, v20
	v_and_b32_e32 v136, 0xffff, v21
	v_lshrrev_b32_e32 v21, 16, v21
	v_and_b32_e32 v137, 0xffff, v22
	s_wait_dscnt 0x1
	v_dual_lshrrev_b32 v112, 16, v12 :: v_dual_lshrrev_b32 v114, 16, v13
	v_and_b32_e32 v113, 0xffff, v13
	v_and_b32_e32 v115, 0xffff, v14
	v_mul_u32_u24_e32 v21, 0x10001, v21
	v_dual_lshrrev_b32 v22, 16, v22 :: v_dual_lshrrev_b32 v138, 16, v23
	v_and_b32_e32 v23, 0xffff, v23
	v_and_b32_e32 v139, 0xffff, v24
	v_lshrrev_b32_e32 v24, 16, v24
	s_delay_alu instid0(VALU_DEP_4)
	v_mul_u32_u24_e32 v22, 0x10001, v22
	v_and_b32_e32 v140, 0xffff, v25
	v_mul_u32_u24_e32 v23, 0x10001, v23
	s_wait_dscnt 0x0
	v_pk_fma_f16 v107, v4, v111, v107
	v_pk_fma_f16 v108, v5, v111, v108
	;; [unrolled: 1-line block ×4, first 2 shown]
	v_mul_u32_u24_e32 v111, 0x10001, v116
	v_dual_lshrrev_b32 v116, 16, v14 :: v_dual_lshrrev_b32 v25, 16, v25
	v_mul_u32_u24_e32 v24, 0x10001, v24
	v_and_b32_e32 v141, 0xffff, v26
	s_delay_alu instid0(VALU_DEP_4)
	v_pk_fma_f16 v62, v4, v111, v62
	v_pk_fma_f16 v63, v5, v111, v63
	;; [unrolled: 1-line block ×4, first 2 shown]
	v_mul_u32_u24_e32 v111, 0x10001, v117
	v_dual_lshrrev_b32 v117, 16, v15 :: v_dual_lshrrev_b32 v26, 16, v26
	v_lshrrev_b32_e32 v142, 16, v27
	v_and_b32_e32 v27, 0xffff, v27
	s_delay_alu instid0(VALU_DEP_4)
	v_pk_fma_f16 v66, v4, v111, v66
	v_pk_fma_f16 v67, v5, v111, v67
	;; [unrolled: 1-line block ×4, first 2 shown]
	v_mul_u32_u24_e32 v111, 0x10001, v118
	v_and_b32_e32 v118, 0xffff, v15
	v_and_b32_e32 v143, 0xffff, v54
	v_lshrrev_b32_e32 v54, 16, v54
	v_and_b32_e32 v144, 0xffff, v55
	v_pk_fma_f16 v8, v4, v111, v8
	v_pk_fma_f16 v9, v5, v111, v9
	;; [unrolled: 1-line block ×4, first 2 shown]
	ds_load_2addr_b64 v[4:7], v91 offset0:192 offset1:224
	v_and_b32_e32 v111, 0xffff, v12
	v_mul_u32_u24_e32 v12, 0x10001, v119
	v_mul_u32_u24_e32 v119, 0x10001, v126
	v_lshrrev_b32_e32 v55, 16, v55
	v_and_b32_e32 v145, 0xffff, v56
	v_dual_lshrrev_b32 v56, 16, v56 :: v_dual_lshrrev_b32 v146, 16, v57
	v_and_b32_e32 v57, 0xffff, v57
	v_and_b32_e32 v147, 0xffff, v58
	v_lshrrev_b32_e32 v58, 16, v58
	v_and_b32_e32 v148, 0xffff, v59
	v_lshrrev_b32_e32 v59, 16, v59
	v_and_b32_e32 v149, 0xffff, v60
	v_dual_lshrrev_b32 v60, 16, v60 :: v_dual_lshrrev_b32 v150, 16, v61
	v_and_b32_e32 v61, 0xffff, v61
	s_wait_dscnt 0x0
	v_pk_fma_f16 v13, v4, v12, v107
	v_pk_fma_f16 v14, v5, v12, v108
	;; [unrolled: 1-line block ×4, first 2 shown]
	v_mul_u32_u24_e32 v100, 0x10001, v120
	v_mul_u32_u24_e32 v120, 0x10001, v128
	s_delay_alu instid0(VALU_DEP_2) | instskip(SKIP_4) | instid1(VALU_DEP_1)
	v_pk_fma_f16 v62, v4, v100, v62
	v_pk_fma_f16 v63, v5, v100, v63
	;; [unrolled: 1-line block ×4, first 2 shown]
	v_mul_u32_u24_e32 v100, 0x10001, v122
	v_pk_fma_f16 v66, v4, v100, v66
	v_pk_fma_f16 v67, v5, v100, v67
	;; [unrolled: 1-line block ×4, first 2 shown]
	v_mul_u32_u24_e32 v100, 0x10001, v121
	v_mul_u32_u24_e32 v121, 0x10001, v130
	s_delay_alu instid0(VALU_DEP_2)
	v_pk_fma_f16 v107, v4, v100, v8
	v_pk_fma_f16 v108, v5, v100, v9
	;; [unrolled: 1-line block ×4, first 2 shown]
	ds_load_2addr_b64 v[4:7], v92 offset1:32
	v_mul_u32_u24_e32 v8, 0x10001, v123
	v_mul_u32_u24_e32 v9, 0x10001, v124
	v_mul_u32_u24_e32 v10, 0x10001, v125
	s_wait_dscnt 0x0
	s_delay_alu instid0(VALU_DEP_3)
	v_pk_fma_f16 v13, v4, v8, v13
	v_pk_fma_f16 v14, v5, v8, v14
	v_pk_fma_f16 v15, v6, v8, v15
	v_pk_fma_f16 v12, v7, v8, v12
	v_pk_fma_f16 v62, v4, v9, v62
	v_pk_fma_f16 v63, v5, v9, v63
	v_pk_fma_f16 v64, v6, v9, v64
	v_pk_fma_f16 v65, v7, v9, v65
	v_pk_fma_f16 v66, v4, v10, v66
	v_pk_fma_f16 v67, v5, v10, v67
	v_pk_fma_f16 v68, v6, v10, v68
	v_pk_fma_f16 v99, v7, v10, v99
	ds_load_2addr_b64 v[8:11], v92 offset0:64 offset1:96
	v_pk_fma_f16 v107, v4, v119, v107
	v_pk_fma_f16 v108, v5, v119, v108
	;; [unrolled: 1-line block ×4, first 2 shown]
	ds_load_b128 v[4:7], v85 offset:928
	v_mul_u32_u24_e32 v119, 0x10001, v127
	v_mul_u32_u24_e32 v127, 0x10001, v131
	s_wait_dscnt 0x1
	v_pk_fma_f16 v62, v8, v120, v62
	v_pk_fma_f16 v63, v9, v120, v63
	;; [unrolled: 1-line block ×4, first 2 shown]
	v_mul_u32_u24_e32 v120, 0x10001, v129
	v_pk_fma_f16 v122, v8, v119, v13
	v_pk_fma_f16 v123, v9, v119, v14
	;; [unrolled: 1-line block ×8, first 2 shown]
	ds_load_b128 v[12:15], v85 offset:944
	v_pk_fma_f16 v8, v8, v120, v107
	v_pk_fma_f16 v9, v9, v120, v108
	;; [unrolled: 1-line block ×4, first 2 shown]
	s_wait_dscnt 0x1
	v_and_b32_e32 v100, 0xffff, v4
	v_dual_lshrrev_b32 v107, 16, v4 :: v_dual_lshrrev_b32 v109, 16, v5
	v_and_b32_e32 v108, 0xffff, v5
	v_and_b32_e32 v120, 0xffff, v6
	v_dual_lshrrev_b32 v121, 16, v6 :: v_dual_lshrrev_b32 v125, 16, v7
	v_and_b32_e32 v126, 0xffff, v7
	ds_load_2addr_b64 v[4:7], v92 offset0:128 offset1:160
	s_wait_dscnt 0x1
	v_and_b32_e32 v128, 0xffff, v13
	v_lshrrev_b32_e32 v129, 16, v13
	v_and_b32_e32 v130, 0xffff, v14
	v_lshrrev_b32_e32 v131, 16, v14
	v_and_b32_e32 v151, 0xffff, v15
	s_wait_dscnt 0x0
	v_pk_fma_f16 v62, v4, v16, v62
	v_pk_fma_f16 v63, v5, v16, v63
	;; [unrolled: 1-line block ×4, first 2 shown]
	v_mul_u32_u24_e32 v65, 0x10001, v132
	v_pk_fma_f16 v122, v4, v127, v122
	v_pk_fma_f16 v123, v5, v127, v123
	;; [unrolled: 1-line block ×12, first 2 shown]
	ds_load_2addr_b64 v[4:7], v92 offset0:192 offset1:224
	v_mul_u32_u24_e32 v17, 0x10001, v18
	v_and_b32_e32 v99, 0xffff, v12
	v_lshrrev_b32_e32 v127, 16, v12
	v_mul_u32_u24_e32 v12, 0x10001, v133
	v_lshrrev_b32_e32 v132, 16, v15
	s_delay_alu instid0(VALU_DEP_4)
	v_mul_u32_u24_e32 v99, 0x10001, v99
	s_wait_dscnt 0x0
	v_pk_fma_f16 v18, v4, v17, v62
	v_pk_fma_f16 v62, v5, v17, v63
	;; [unrolled: 1-line block ×4, first 2 shown]
	v_mul_u32_u24_e32 v17, 0x10001, v19
	v_pk_fma_f16 v13, v4, v12, v122
	v_pk_fma_f16 v14, v5, v12, v123
	;; [unrolled: 1-line block ×8, first 2 shown]
	v_mul_u32_u24_e32 v65, 0x10001, v134
	s_delay_alu instid0(VALU_DEP_1)
	v_pk_fma_f16 v67, v4, v65, v8
	v_pk_fma_f16 v68, v5, v65, v9
	;; [unrolled: 1-line block ×4, first 2 shown]
	ds_load_2addr_b64 v[4:7], v93 offset1:32
	v_mul_u32_u24_e32 v8, 0x10001, v135
	v_mul_u32_u24_e32 v9, 0x10001, v20
	;; [unrolled: 1-line block ×3, first 2 shown]
	s_wait_dscnt 0x0
	s_delay_alu instid0(VALU_DEP_3)
	v_pk_fma_f16 v13, v4, v8, v13
	v_pk_fma_f16 v14, v5, v8, v14
	;; [unrolled: 1-line block ×12, first 2 shown]
	ds_load_2addr_b64 v[8:11], v93 offset0:64 offset1:96
	v_pk_fma_f16 v66, v4, v21, v67
	v_pk_fma_f16 v67, v5, v21, v68
	v_pk_fma_f16 v68, v6, v21, v119
	v_pk_fma_f16 v21, v7, v21, v65
	ds_load_b128 v[4:7], v85 offset:960
	v_mul_u32_u24_e32 v65, 0x10001, v137
	s_wait_dscnt 0x1
	v_pk_fma_f16 v18, v8, v22, v18
	v_pk_fma_f16 v20, v9, v22, v20
	;; [unrolled: 1-line block ×8, first 2 shown]
	v_mul_u32_u24_e32 v23, 0x10001, v138
	v_pk_fma_f16 v119, v8, v65, v13
	v_pk_fma_f16 v122, v9, v65, v14
	;; [unrolled: 1-line block ×4, first 2 shown]
	ds_load_b128 v[12:15], v85 offset:976
	v_pk_fma_f16 v8, v8, v23, v66
	v_pk_fma_f16 v9, v9, v23, v67
	;; [unrolled: 1-line block ×3, first 2 shown]
	s_wait_dscnt 0x1
	v_and_b32_e32 v66, 0xffff, v4
	v_dual_lshrrev_b32 v67, 16, v4 :: v_dual_lshrrev_b32 v124, 16, v5
	v_and_b32_e32 v68, 0xffff, v5
	v_and_b32_e32 v133, 0xffff, v6
	v_dual_lshrrev_b32 v134, 16, v6 :: v_dual_lshrrev_b32 v135, 16, v7
	v_and_b32_e32 v136, 0xffff, v7
	ds_load_2addr_b64 v[4:7], v93 offset0:128 offset1:160
	v_pk_fma_f16 v11, v11, v23, v21
	v_mul_u32_u24_e32 v21, 0x10001, v139
	v_mul_u32_u24_e32 v66, 0x10001, v66
	;; [unrolled: 1-line block ×4, first 2 shown]
	s_wait_dscnt 0x1
	v_and_b32_e32 v137, 0xffff, v13
	v_lshrrev_b32_e32 v138, 16, v13
	v_and_b32_e32 v139, 0xffff, v14
	v_lshrrev_b32_e32 v152, 16, v15
	v_and_b32_e32 v153, 0xffff, v15
	s_wait_dscnt 0x0
	v_pk_fma_f16 v18, v4, v24, v18
	v_pk_fma_f16 v20, v5, v24, v20
	v_pk_fma_f16 v62, v6, v24, v62
	v_pk_fma_f16 v16, v7, v24, v16
	v_mul_u32_u24_e32 v24, 0x10001, v140
	v_pk_fma_f16 v23, v4, v21, v119
	v_pk_fma_f16 v64, v5, v21, v122
	;; [unrolled: 1-line block ×8, first 2 shown]
	v_mul_u32_u24_e32 v24, 0x10001, v25
	v_and_b32_e32 v122, 0xffff, v12
	v_lshrrev_b32_e32 v123, 16, v12
	v_mul_u32_u24_e32 v12, 0x10001, v141
	v_lshrrev_b32_e32 v140, 16, v14
	v_pk_fma_f16 v8, v4, v24, v8
	v_pk_fma_f16 v9, v5, v24, v9
	;; [unrolled: 1-line block ×4, first 2 shown]
	ds_load_2addr_b64 v[4:7], v93 offset0:192 offset1:224
	s_wait_dscnt 0x0
	v_pk_fma_f16 v13, v4, v12, v23
	v_pk_fma_f16 v14, v5, v12, v64
	;; [unrolled: 1-line block ×4, first 2 shown]
	v_mul_u32_u24_e32 v21, 0x10001, v26
	v_mul_u32_u24_e32 v64, 0x10001, v118
	;; [unrolled: 1-line block ×3, first 2 shown]
	s_delay_alu instid0(VALU_DEP_3) | instskip(SKIP_4) | instid1(VALU_DEP_1)
	v_pk_fma_f16 v18, v4, v21, v18
	v_pk_fma_f16 v20, v5, v21, v20
	;; [unrolled: 1-line block ×4, first 2 shown]
	v_mul_u32_u24_e32 v21, 0x10001, v27
	v_pk_fma_f16 v19, v4, v21, v19
	v_pk_fma_f16 v22, v5, v21, v22
	;; [unrolled: 1-line block ×4, first 2 shown]
	v_mul_u32_u24_e32 v21, 0x10001, v142
	s_delay_alu instid0(VALU_DEP_1)
	v_pk_fma_f16 v25, v4, v21, v8
	v_pk_fma_f16 v26, v5, v21, v9
	;; [unrolled: 1-line block ×4, first 2 shown]
	ds_load_2addr_b64 v[4:7], v94 offset1:32
	v_mul_u32_u24_e32 v8, 0x10001, v143
	v_mul_u32_u24_e32 v9, 0x10001, v54
	;; [unrolled: 1-line block ×6, first 2 shown]
	s_wait_dscnt 0x0
	v_pk_fma_f16 v13, v4, v8, v13
	v_pk_fma_f16 v14, v5, v8, v14
	;; [unrolled: 1-line block ×12, first 2 shown]
	ds_load_2addr_b64 v[8:11], v94 offset0:64 offset1:96
	v_pk_fma_f16 v25, v4, v54, v25
	v_pk_fma_f16 v26, v5, v54, v26
	v_pk_fma_f16 v27, v6, v54, v27
	v_pk_fma_f16 v21, v7, v54, v21
	ds_load_b128 v[4:7], v85 offset:992
	v_mul_u32_u24_e32 v54, 0x10001, v145
	s_wait_dscnt 0x1
	s_delay_alu instid0(VALU_DEP_1)
	v_pk_fma_f16 v57, v8, v54, v13
	v_pk_fma_f16 v62, v9, v54, v14
	v_pk_fma_f16 v63, v10, v54, v15
	v_pk_fma_f16 v54, v11, v54, v12
	v_pk_fma_f16 v18, v8, v55, v18
	v_pk_fma_f16 v20, v9, v55, v20
	v_pk_fma_f16 v23, v10, v55, v23
	v_pk_fma_f16 v16, v11, v55, v16
	ds_load_b128 v[12:15], v85 offset:1008
	v_mul_u32_u24_e32 v55, 0x10001, v146
	s_wait_dscnt 0x1
	v_and_b32_e32 v119, 0xffff, v4
	v_dual_lshrrev_b32 v141, 16, v4 :: v_dual_lshrrev_b32 v143, 16, v5
	v_and_b32_e32 v142, 0xffff, v5
	v_and_b32_e32 v144, 0xffff, v6
	v_dual_lshrrev_b32 v145, 16, v6 :: v_dual_lshrrev_b32 v146, 16, v7
	v_and_b32_e32 v154, 0xffff, v7
	ds_load_2addr_b64 v[4:7], v94 offset0:128 offset1:160
	v_pk_fma_f16 v17, v11, v56, v17
	v_pk_fma_f16 v11, v11, v55, v21
	v_mul_u32_u24_e32 v21, 0x10001, v147
	v_pk_fma_f16 v19, v8, v56, v19
	v_pk_fma_f16 v22, v9, v56, v22
	;; [unrolled: 1-line block ×6, first 2 shown]
	s_wait_dscnt 0x1
	v_and_b32_e32 v147, 0xffff, v12
	v_and_b32_e32 v155, 0xffff, v13
	v_lshrrev_b32_e32 v156, 16, v13
	v_and_b32_e32 v157, 0xffff, v14
	v_dual_lshrrev_b32 v158, 16, v14 :: v_dual_lshrrev_b32 v159, 16, v15
	v_and_b32_e32 v160, 0xffff, v15
	v_mul_u32_u24_e32 v55, 0x10001, v105
	v_mul_u32_u24_e32 v56, 0x10001, v110
	;; [unrolled: 1-line block ×3, first 2 shown]
	s_wait_dscnt 0x0
	v_pk_fma_f16 v25, v4, v21, v57
	v_pk_fma_f16 v26, v5, v21, v62
	v_pk_fma_f16 v27, v6, v21, v63
	v_pk_fma_f16 v21, v7, v21, v54
	v_mul_u32_u24_e32 v54, 0x10001, v58
	v_mul_u32_u24_e32 v62, 0x10001, v114
	;; [unrolled: 1-line block ×5, first 2 shown]
	v_pk_fma_f16 v18, v4, v54, v18
	v_pk_fma_f16 v20, v5, v54, v20
	;; [unrolled: 1-line block ×4, first 2 shown]
	v_mul_u32_u24_e32 v54, 0x10001, v148
	v_lshrrev_b32_e32 v148, 16, v12
	v_mul_u32_u24_e32 v12, 0x10001, v149
	v_mul_u32_u24_e32 v119, 0x10001, v119
	;; [unrolled: 1-line block ×3, first 2 shown]
	v_pk_fma_f16 v19, v4, v54, v19
	v_pk_fma_f16 v22, v5, v54, v22
	;; [unrolled: 1-line block ×4, first 2 shown]
	v_mul_u32_u24_e32 v54, 0x10001, v59
	v_mul_u32_u24_e32 v136, 0x10001, v147
	;; [unrolled: 1-line block ×3, first 2 shown]
	s_delay_alu instid0(VALU_DEP_3)
	v_pk_fma_f16 v8, v4, v54, v8
	v_pk_fma_f16 v9, v5, v54, v9
	;; [unrolled: 1-line block ×4, first 2 shown]
	ds_load_2addr_b64 v[4:7], v94 offset0:192 offset1:224
	v_mul_u32_u24_e32 v54, 0x10001, v103
	s_wait_dscnt 0x0
	v_pk_fma_f16 v13, v4, v12, v25
	v_pk_fma_f16 v14, v5, v12, v26
	;; [unrolled: 1-line block ×4, first 2 shown]
	v_mul_u32_u24_e32 v21, 0x10001, v60
	v_mul_u32_u24_e32 v60, 0x10001, v113
	s_delay_alu instid0(VALU_DEP_2) | instskip(SKIP_4) | instid1(VALU_DEP_1)
	v_pk_fma_f16 v18, v4, v21, v18
	v_pk_fma_f16 v20, v5, v21, v20
	;; [unrolled: 1-line block ×4, first 2 shown]
	v_mul_u32_u24_e32 v21, 0x10001, v61
	v_pk_fma_f16 v19, v4, v21, v19
	v_pk_fma_f16 v22, v5, v21, v22
	;; [unrolled: 1-line block ×4, first 2 shown]
	v_mul_u32_u24_e32 v21, 0x10001, v150
	s_delay_alu instid0(VALU_DEP_1)
	v_pk_fma_f16 v25, v4, v21, v8
	v_pk_fma_f16 v26, v5, v21, v9
	;; [unrolled: 1-line block ×4, first 2 shown]
	ds_load_2addr_b64 v[4:7], v95 offset1:32
	v_mul_u32_u24_e32 v8, 0x10001, v69
	v_mul_u32_u24_e32 v9, 0x10001, v101
	;; [unrolled: 1-line block ×3, first 2 shown]
	s_wait_dscnt 0x0
	s_delay_alu instid0(VALU_DEP_3)
	v_pk_fma_f16 v13, v4, v8, v13
	v_pk_fma_f16 v14, v5, v8, v14
	;; [unrolled: 1-line block ×12, first 2 shown]
	ds_load_2addr_b64 v[8:11], v95 offset0:64 offset1:96
	v_pk_fma_f16 v25, v4, v54, v25
	v_pk_fma_f16 v26, v5, v54, v26
	;; [unrolled: 1-line block ×4, first 2 shown]
	ds_load_2addr_b64 v[4:7], v95 offset0:128 offset1:160
	v_mul_u32_u24_e32 v54, 0x10001, v104
	v_mul_u32_u24_e32 v104, 0x10001, v121
	;; [unrolled: 1-line block ×6, first 2 shown]
	s_wait_dscnt 0x1
	v_pk_fma_f16 v57, v8, v54, v13
	v_pk_fma_f16 v58, v9, v54, v14
	;; [unrolled: 1-line block ×4, first 2 shown]
	ds_load_2addr_b64 v[12:15], v95 offset0:192 offset1:224
	v_pk_fma_f16 v18, v8, v55, v18
	v_pk_fma_f16 v20, v9, v55, v20
	;; [unrolled: 1-line block ×4, first 2 shown]
	v_mul_u32_u24_e32 v55, 0x10001, v106
	v_pk_fma_f16 v19, v8, v56, v19
	v_pk_fma_f16 v22, v9, v56, v22
	;; [unrolled: 1-line block ×8, first 2 shown]
	ds_load_2addr_b64 v[8:11], v96 offset1:32
	v_mul_u32_u24_e32 v55, 0x10001, v111
	v_mul_u32_u24_e32 v56, 0x10001, v112
	s_wait_dscnt 0x2
	v_pk_fma_f16 v61, v4, v60, v19
	v_pk_fma_f16 v22, v5, v60, v22
	;; [unrolled: 1-line block ×12, first 2 shown]
	ds_load_2addr_b64 v[16:19], v96 offset0:64 offset1:96
	v_pk_fma_f16 v26, v5, v62, v26
	v_pk_fma_f16 v27, v6, v62, v27
	s_wait_dscnt 0x2
	v_pk_fma_f16 v55, v12, v63, v55
	v_pk_fma_f16 v65, v13, v63, v20
	;; [unrolled: 1-line block ×8, first 2 shown]
	v_mul_u32_u24_e32 v64, 0x10001, v117
	v_pk_fma_f16 v25, v4, v62, v25
	v_pk_fma_f16 v62, v7, v62, v21
	ds_load_2addr_b64 v[4:7], v96 offset0:128 offset1:160
	v_mul_u32_u24_e32 v21, 0x10001, v115
	v_pk_fma_f16 v102, v13, v64, v26
	v_pk_fma_f16 v103, v14, v64, v27
	v_mul_u32_u24_e32 v26, 0x10001, v107
	v_mul_u32_u24_e32 v27, 0x10001, v108
	v_pk_fma_f16 v57, v12, v21, v57
	v_pk_fma_f16 v58, v13, v21, v58
	;; [unrolled: 1-line block ×4, first 2 shown]
	ds_load_2addr_b64 v[20:23], v96 offset0:192 offset1:224
	v_pk_fma_f16 v101, v12, v64, v25
	v_pk_fma_f16 v62, v15, v64, v62
	v_mul_u32_u24_e32 v25, 0x10001, v100
	s_wait_dscnt 0x3
	v_pk_fma_f16 v64, v9, v26, v65
	v_pk_fma_f16 v65, v10, v26, v69
	v_pk_fma_f16 v61, v8, v27, v61
	v_pk_fma_f16 v63, v9, v27, v63
	v_pk_fma_f16 v69, v10, v27, v24
	v_pk_fma_f16 v60, v11, v27, v60
	v_mul_u32_u24_e32 v100, 0x10001, v109
	v_pk_fma_f16 v57, v8, v25, v57
	v_pk_fma_f16 v58, v9, v25, v58
	;; [unrolled: 1-line block ×10, first 2 shown]
	v_mul_u32_u24_e32 v100, 0x10001, v120
	s_wait_dscnt 0x2
	v_pk_fma_f16 v61, v16, v105, v61
	v_pk_fma_f16 v63, v17, v105, v63
	;; [unrolled: 1-line block ×4, first 2 shown]
	v_mul_u32_u24_e32 v105, 0x10001, v125
	ds_load_2addr_b64 v[12:15], v97 offset1:32
	v_pk_fma_f16 v106, v16, v100, v57
	v_pk_fma_f16 v58, v17, v100, v58
	;; [unrolled: 1-line block ×12, first 2 shown]
	v_mul_u32_u24_e32 v105, 0x10001, v127
	v_mul_u32_u24_e32 v108, 0x10001, v128
	ds_load_2addr_b64 v[24:27], v97 offset0:64 offset1:96
	s_wait_dscnt 0x3
	v_pk_fma_f16 v106, v4, v99, v106
	v_pk_fma_f16 v109, v5, v99, v58
	;; [unrolled: 1-line block ×12, first 2 shown]
	v_mul_u32_u24_e32 v108, 0x10001, v129
	v_mul_u32_u24_e32 v111, 0x10001, v131
	;; [unrolled: 1-line block ×3, first 2 shown]
	ds_load_2addr_b64 v[8:11], v97 offset0:128 offset1:160
	ds_load_2addr_b64 v[54:57], v97 offset0:192 offset1:224
	v_pk_fma_f16 v101, v4, v108, v101
	v_pk_fma_f16 v102, v5, v108, v102
	;; [unrolled: 1-line block ×4, first 2 shown]
	v_mul_u32_u24_e32 v62, 0x10001, v130
	s_wait_dscnt 0x4
	v_pk_fma_f16 v100, v20, v111, v100
	v_pk_fma_f16 v113, v21, v111, v64
	;; [unrolled: 1-line block ×8, first 2 shown]
	v_mul_u32_u24_e32 v112, 0x10001, v132
	v_pk_fma_f16 v106, v20, v62, v106
	v_pk_fma_f16 v109, v21, v62, v109
	;; [unrolled: 1-line block ×4, first 2 shown]
	v_mul_u32_u24_e32 v115, 0x10001, v124
	v_pk_fma_f16 v20, v20, v112, v101
	v_pk_fma_f16 v21, v21, v112, v102
	v_pk_fma_f16 v22, v22, v112, v103
	v_pk_fma_f16 v23, v23, v112, v108
	ds_load_2addr_b64 v[16:19], v98 offset1:32
	v_mul_u32_u24_e32 v117, 0x10001, v134
	v_mul_u32_u24_e32 v120, 0x10001, v135
	s_wait_dscnt 0x4
	v_pk_fma_f16 v101, v12, v66, v106
	v_pk_fma_f16 v102, v13, v66, v109
	;; [unrolled: 1-line block ×16, first 2 shown]
	ds_load_2addr_b64 v[58:61], v98 offset0:64 offset1:96
	v_mul_u32_u24_e32 v124, 0x10001, v138
	s_wait_dscnt 0x4
	v_pk_fma_f16 v20, v24, v116, v101
	v_pk_fma_f16 v21, v25, v116, v102
	;; [unrolled: 1-line block ×16, first 2 shown]
	ds_load_2addr_b64 v[4:7], v98 offset0:128 offset1:160
	v_mul_u32_u24_e32 v125, 0x10001, v139
	v_mul_u32_u24_e32 v127, 0x10001, v153
	v_mul_u32_u24_e32 v128, 0x10001, v152
	s_wait_dscnt 0x4
	v_pk_fma_f16 v20, v8, v121, v20
	v_pk_fma_f16 v21, v9, v121, v21
	;; [unrolled: 1-line block ×16, first 2 shown]
	ds_load_2addr_b64 v[62:65], v98 offset0:192 offset1:224
	s_wait_dscnt 0x0
	s_barrier_signal -1
	s_barrier_wait -1
	s_load_b32 s2, s[48:49], 0x4
	v_mul_u32_u24_e32 v129, 0x10001, v141
	v_mul_u32_u24_e32 v130, 0x10001, v142
	v_mul_u32_u24_e32 v131, 0x10001, v143
	v_pk_fma_f16 v12, v54, v125, v20
	v_pk_fma_f16 v13, v55, v125, v21
	;; [unrolled: 1-line block ×16, first 2 shown]
	v_mul_u32_u24_e32 v132, 0x10001, v144
	v_mul_u32_u24_e32 v134, 0x10001, v154
	;; [unrolled: 1-line block ×3, first 2 shown]
	v_pk_fma_f16 v12, v16, v119, v12
	v_pk_fma_f16 v13, v17, v119, v13
	;; [unrolled: 1-line block ×16, first 2 shown]
	v_mul_u32_u24_e32 v138, 0x10001, v155
	v_mul_u32_u24_e32 v139, 0x10001, v156
	v_pk_fma_f16 v12, v58, v132, v12
	v_pk_fma_f16 v13, v59, v132, v13
	;; [unrolled: 1-line block ×16, first 2 shown]
	v_mul_u32_u24_e32 v141, 0x10001, v158
	v_mul_u32_u24_e32 v142, 0x10001, v160
	;; [unrolled: 1-line block ×3, first 2 shown]
	v_pk_fma_f16 v12, v4, v136, v12
	v_pk_fma_f16 v13, v5, v136, v13
	;; [unrolled: 1-line block ×16, first 2 shown]
	s_wait_kmcnt 0x0
	s_lshl_b32 s2, s2, 7
	v_pk_fma_f16 v111, v62, v140, v12
	v_pk_fma_f16 v114, v63, v140, v13
	;; [unrolled: 1-line block ×16, first 2 shown]
	s_add_co_i32 s22, s2, s22
	s_delay_alu instid0(SALU_CYCLE_1)
	s_cmp_ge_i32 s22, s40
	s_cbranch_scc0 .LBB0_17
; %bb.18:
	v_dual_mov_b32 v4, 32 :: v_dual_mov_b32 v5, v73
.LBB0_19:
	s_delay_alu instid0(VALU_DEP_1)
	v_cmp_lt_i32_e32 vcc_lo, v78, v4
	s_cmp_lg_u64 s[24:25], 0
	s_cselect_b32 s2, -1, 0
	s_cmp_eq_u32 s41, 0
	v_cndmask_b32_e32 v6, v5, v78, vcc_lo
	v_cmp_lt_i32_e32 vcc_lo, v77, v4
	s_cselect_b32 s3, -1, 0
	s_delay_alu instid0(SALU_CYCLE_1)
	s_and_b32 s2, s3, s2
	v_cndmask_b32_e32 v10, v5, v77, vcc_lo
	v_cmp_lt_i32_e32 vcc_lo, v76, v4
	v_dual_cndmask_b32 v14, v5, v76 :: v_dual_lshlrev_b32 v9, 2, v6
	ds_bpermute_b32 v6, v9, v32
	ds_bpermute_b32 v7, v9, v33
	;; [unrolled: 1-line block ×4, first 2 shown]
	v_cmp_lt_i32_e32 vcc_lo, v75, v4
	v_lshlrev_b32_e32 v13, 2, v10
	v_lshlrev_b32_e32 v14, 2, v14
	s_wait_dscnt 0x2
	v_pk_add_f32 v[6:7], v[32:33], v[6:7]
	s_wait_dscnt 0x0
	v_pk_add_f32 v[8:9], v[30:31], v[8:9]
	ds_bpermute_b32 v10, v13, v6
	ds_bpermute_b32 v11, v13, v7
	;; [unrolled: 1-line block ×4, first 2 shown]
	s_wait_dscnt 0x2
	v_pk_add_f32 v[6:7], v[6:7], v[10:11]
	s_wait_dscnt 0x0
	v_pk_add_f32 v[8:9], v[8:9], v[12:13]
	ds_bpermute_b32 v10, v14, v6
	ds_bpermute_b32 v11, v14, v7
	;; [unrolled: 1-line block ×4, first 2 shown]
	v_cndmask_b32_e32 v14, v5, v75, vcc_lo
	v_cmp_lt_i32_e32 vcc_lo, v74, v4
	s_delay_alu instid0(VALU_DEP_2)
	v_lshlrev_b32_e32 v14, 2, v14
	v_cndmask_b32_e32 v4, v5, v74, vcc_lo
	s_and_b32 vcc_lo, exec_lo, s2
	s_mov_b32 s2, 0
	s_wait_dscnt 0x2
	v_pk_add_f32 v[6:7], v[6:7], v[10:11]
	s_wait_dscnt 0x0
	v_pk_add_f32 v[8:9], v[8:9], v[12:13]
	ds_bpermute_b32 v10, v14, v6
	ds_bpermute_b32 v11, v14, v7
	;; [unrolled: 1-line block ×4, first 2 shown]
	v_lshlrev_b32_e32 v14, 2, v4
	s_wait_dscnt 0x2
	v_pk_add_f32 v[4:5], v[6:7], v[10:11]
	s_wait_dscnt 0x0
	v_pk_add_f32 v[8:9], v[8:9], v[12:13]
	ds_bpermute_b32 v6, v14, v4
	ds_bpermute_b32 v7, v14, v5
	;; [unrolled: 1-line block ×4, first 2 shown]
	s_wait_dscnt 0x2
	v_pk_add_f32 v[6:7], v[4:5], v[6:7]
	s_wait_dscnt 0x0
	v_pk_add_f32 v[4:5], v[8:9], v[10:11]
	v_add_nc_u32_e32 v8, s33, v28
	s_cbranch_vccnz .LBB0_22
; %bb.20:
	v_add_nc_u32_e32 v9, s33, v28
	s_and_not1_b32 vcc_lo, exec_lo, s2
	s_cbranch_vccz .LBB0_23
; %bb.21:
	s_delay_alu instid0(VALU_DEP_1)
	v_mov_b32_e32 v8, v9
	s_branch .LBB0_24
.LBB0_22:
                                        ; implicit-def: $vgpr9
.LBB0_23:
	s_delay_alu instid0(VALU_DEP_1) | instskip(SKIP_1) | instid1(VALU_DEP_2)
	v_dual_ashrrev_i32 v9, 31, v8 :: v_dual_max_num_f32 v15, v1, v1
	v_dual_max_num_f32 v16, v2, v2 :: v_dual_max_num_f32 v17, v3, v3
	v_lshl_add_u64 v[10:11], v[8:9], 2, s[24:25]
	v_max_num_f32_e32 v9, v0, v0
	global_load_b128 v[10:13], v[10:11], off
	s_wait_loadcnt 0x0
	v_dual_max_num_f32 v14, v10, v10 :: v_dual_max_num_f32 v18, v11, v11
	v_dual_max_num_f32 v19, v12, v12 :: v_dual_max_num_f32 v20, v13, v13
	s_delay_alu instid0(VALU_DEP_2) | instskip(NEXT) | instid1(VALU_DEP_2)
	v_max_num_f32_e32 v14, v9, v14
	v_dual_max_num_f32 v15, v15, v18 :: v_dual_max_num_f32 v16, v16, v19
	s_delay_alu instid0(VALU_DEP_2) | instskip(NEXT) | instid1(VALU_DEP_2)
	v_dual_max_num_f32 v17, v17, v20 :: v_dual_sub_f32 v0, v0, v14
	v_dual_sub_f32 v9, v10, v14 :: v_dual_sub_f32 v1, v1, v15
	s_delay_alu instid0(VALU_DEP_3) | instskip(NEXT) | instid1(VALU_DEP_3)
	v_dual_sub_f32 v10, v11, v15 :: v_dual_sub_f32 v11, v2, v16
	v_dual_sub_f32 v13, v13, v17 :: v_dual_mul_f32 v2, 0x3fb8aa3b, v0
	v_dual_sub_f32 v12, v12, v16 :: v_dual_sub_f32 v18, v3, v17
	s_delay_alu instid0(VALU_DEP_3) | instskip(NEXT) | instid1(VALU_DEP_3)
	v_dual_mul_f32 v3, 0x3fb8aa3b, v9 :: v_dual_mul_f32 v20, 0x3fb8aa3b, v10
	v_fma_f32 v25, 0x3fb8aa3b, v0, -v2
	v_rndne_f32_e32 v26, v2
	s_delay_alu instid0(VALU_DEP_4)
	v_dual_mul_f32 v19, 0x3fb8aa3b, v1 :: v_dual_mul_f32 v22, 0x3fb8aa3b, v12
	v_dual_mul_f32 v21, 0x3fb8aa3b, v11 :: v_dual_mul_f32 v24, 0x3fb8aa3b, v13
	v_fma_f32 v27, 0x3fb8aa3b, v9, -v3
	v_rndne_f32_e32 v28, v3
	v_fma_f32 v32, 0x3fb8aa3b, v10, -v20
	v_rndne_f32_e32 v33, v20
	v_dual_fmac_f32 v25, 0x32a5705f, v0 :: v_dual_sub_f32 v2, v2, v26
	v_mul_f32_e32 v23, 0x3fb8aa3b, v18
	v_fma_f32 v30, 0x3fb8aa3b, v1, -v19
	v_rndne_f32_e32 v31, v19
	v_fma_f32 v40, 0x3fb8aa3b, v13, -v24
	v_dual_fmac_f32 v27, 0x32a5705f, v9 :: v_dual_fmac_f32 v32, 0x32a5705f, v10
	s_delay_alu instid0(VALU_DEP_4)
	v_dual_sub_f32 v3, v3, v28 :: v_dual_fmac_f32 v30, 0x32a5705f, v1
	v_sub_f32_e32 v20, v20, v33
	v_add_f32_e32 v2, v2, v25
	v_fma_f32 v34, 0x3fb8aa3b, v11, -v21
	v_rndne_f32_e32 v35, v21
	v_fma_f32 v36, 0x3fb8aa3b, v12, -v22
	v_dual_sub_f32 v19, v19, v31 :: v_dual_fmac_f32 v40, 0x32a5705f, v13
	v_dual_add_f32 v3, v3, v27 :: v_dual_add_f32 v20, v20, v32
	v_exp_f32_e32 v2, v2
	v_rndne_f32_e32 v37, v22
	v_rndne_f32_e32 v41, v24
	v_cvt_i32_f32_e32 v26, v26
	v_dual_sub_f32 v21, v21, v35 :: v_dual_fmac_f32 v36, 0x32a5705f, v12
	v_dual_fmac_f32 v34, 0x32a5705f, v11 :: v_dual_add_f32 v19, v19, v30
	v_exp_f32_e32 v3, v3
	v_cvt_i32_f32_e32 v28, v28
	v_sub_f32_e32 v22, v22, v37
	s_delay_alu instid0(VALU_DEP_3)
	v_dual_sub_f32 v24, v24, v41 :: v_dual_add_f32 v21, v21, v34
	v_ldexp_f32 v2, v2, v26
	v_cmp_ngt_f32_e32 vcc_lo, 0xc2ce8ed0, v0
	v_exp_f32_e32 v19, v19
	v_exp_f32_e32 v20, v20
	v_cvt_i32_f32_e32 v31, v31
	v_cvt_i32_f32_e32 v33, v33
	v_dual_add_f32 v24, v24, v40 :: v_dual_cndmask_b32 v2, 0, v2, vcc_lo
	v_ldexp_f32 v3, v3, v28
	v_cmp_ngt_f32_e32 vcc_lo, 0xc2ce8ed0, v9
	v_fma_f32 v38, 0x3fb8aa3b, v18, -v23
	v_rndne_f32_e32 v39, v23
	v_exp_f32_e32 v21, v21
	v_cvt_i32_f32_e32 v35, v35
	v_ldexp_f32 v19, v19, v31
	v_ldexp_f32 v20, v20, v33
	v_cndmask_b32_e32 v3, 0, v3, vcc_lo
	v_cmp_ngt_f32_e32 vcc_lo, 0xc2ce8ed0, v1
	v_dual_fmac_f32 v38, 0x32a5705f, v18 :: v_dual_sub_f32 v23, v23, v39
	v_add_f32_e32 v22, v22, v36
	v_ldexp_f32 v21, v21, v35
	v_cndmask_b32_e32 v19, 0, v19, vcc_lo
	v_cmp_ngt_f32_e32 vcc_lo, 0xc2ce8ed0, v10
	v_add_f32_e32 v23, v23, v38
	v_exp_f32_e32 v22, v22
	v_cvt_i32_f32_e32 v37, v37
	v_cvt_i32_f32_e32 v39, v39
	v_cndmask_b32_e32 v20, 0, v20, vcc_lo
	v_cmp_ngt_f32_e32 vcc_lo, 0xc2ce8ed0, v11
	v_exp_f32_e32 v23, v23
	v_exp_f32_e32 v24, v24
	v_ldexp_f32 v22, v22, v37
	v_cvt_i32_f32_e32 v41, v41
	v_cndmask_b32_e32 v21, 0, v21, vcc_lo
	v_cmp_ngt_f32_e32 vcc_lo, 0xc2ce8ed0, v12
	s_delay_alu instid0(TRANS32_DEP_2)
	v_ldexp_f32 v23, v23, v39
	s_delay_alu instid0(TRANS32_DEP_1) | instid1(VALU_DEP_4)
	v_ldexp_f32 v24, v24, v41
	v_cndmask_b32_e32 v22, 0, v22, vcc_lo
	v_cmp_ngt_f32_e32 vcc_lo, 0xc2ce8ed0, v18
	s_delay_alu instid0(VALU_DEP_4)
	v_cndmask_b32_e32 v23, 0, v23, vcc_lo
	v_cmp_ngt_f32_e32 vcc_lo, 0xc2ce8ed0, v13
	v_cndmask_b32_e32 v24, 0, v24, vcc_lo
	v_cmp_nlt_f32_e32 vcc_lo, 0x42b17218, v0
	v_cndmask_b32_e32 v0, 0x7f800000, v2, vcc_lo
	v_cmp_nlt_f32_e32 vcc_lo, 0x42b17218, v9
	s_delay_alu instid0(VALU_DEP_2) | instskip(SKIP_2) | instid1(VALU_DEP_3)
	v_cvt_f16_f32_e32 v9, v0
	v_cndmask_b32_e32 v2, 0x7f800000, v3, vcc_lo
	v_cmp_nlt_f32_e32 vcc_lo, 0x42b17218, v1
	v_and_b32_e32 v9, 0xffff, v9
	v_cndmask_b32_e32 v1, 0x7f800000, v19, vcc_lo
	v_cmp_nlt_f32_e32 vcc_lo, 0x42b17218, v10
	v_cndmask_b32_e32 v3, 0x7f800000, v20, vcc_lo
	v_cmp_nlt_f32_e32 vcc_lo, 0x42b17218, v11
	s_delay_alu instid0(VALU_DEP_2) | instskip(SKIP_3) | instid1(VALU_DEP_3)
	v_pk_fma_f32 v[6:7], v[6:7], v[0:1], v[2:3]
	v_cndmask_b32_e32 v10, 0x7f800000, v21, vcc_lo
	v_cmp_nlt_f32_e32 vcc_lo, 0x42b17218, v12
	v_mul_u32_u24_e32 v3, 0x10001, v9
	v_cvt_f16_f32_e32 v19, v10
	v_cndmask_b32_e32 v12, 0x7f800000, v22, vcc_lo
	v_cmp_nlt_f32_e32 vcc_lo, 0x42b17218, v18
	v_cvt_f16_f32_e32 v18, v1
	v_pk_mul_f16 v111, v111, v3
	v_and_b32_e32 v1, 0xffff, v19
	v_pk_mul_f16 v114, v114, v3
	v_cndmask_b32_e32 v11, 0x7f800000, v23, vcc_lo
	v_and_b32_e32 v0, 0xffff, v18
	v_cmp_nlt_f32_e32 vcc_lo, 0x42b17218, v13
	v_mul_u32_u24_e32 v1, 0x10001, v1
	v_pk_mul_f16 v113, v113, v3
	v_cvt_f16_f32_e32 v20, v11
	v_mul_u32_u24_e32 v0, 0x10001, v0
	v_cndmask_b32_e32 v13, 0x7f800000, v24, vcc_lo
	v_pk_mul_f16 v112, v112, v3
	v_pk_mul_f16 v104, v104, v1
	v_and_b32_e32 v2, 0xffff, v20
	v_pk_mul_f16 v107, v107, v0
	v_pk_mul_f16 v110, v110, v0
	;; [unrolled: 1-line block ×4, first 2 shown]
	v_mul_u32_u24_e32 v2, 0x10001, v2
	v_pk_mul_f16 v106, v106, v1
	v_pk_mul_f16 v105, v105, v1
	v_pk_mul_f16 v103, v103, v1
	v_pk_fma_f32 v[4:5], v[4:5], v[10:11], v[12:13]
	v_pk_mul_f16 v102, v102, v2
	v_pk_mul_f16 v101, v101, v2
	;; [unrolled: 1-line block ×4, first 2 shown]
	v_mov_b64_e32 v[0:1], v[14:15]
	v_mov_b64_e32 v[2:3], v[16:17]
.LBB0_24:
	s_load_b32 s0, s[0:1], 0xd4
	v_mov_b32_e32 v10, 1.0
	s_wait_kmcnt 0x0
	s_cmp_lg_u32 s0, 1
	s_cselect_b32 s1, -1, 0
	s_cmp_eq_u32 s0, 1
	s_cselect_b32 s2, -1, 0
	s_and_b32 vcc_lo, exec_lo, s1
	s_cbranch_vccnz .LBB0_26
; %bb.25:
	v_div_scale_f32 v9, null, v6, v6, 1.0
	s_delay_alu instid0(VALU_DEP_1) | instskip(SKIP_1) | instid1(TRANS32_DEP_1)
	v_rcp_f32_e32 v10, v9
	v_nop
	v_fma_f32 v11, -v9, v10, 1.0
	s_delay_alu instid0(VALU_DEP_1) | instskip(SKIP_1) | instid1(VALU_DEP_1)
	v_fmac_f32_e32 v10, v11, v10
	v_div_scale_f32 v11, vcc_lo, 1.0, v6, 1.0
	v_mul_f32_e32 v12, v11, v10
	s_delay_alu instid0(VALU_DEP_1) | instskip(NEXT) | instid1(VALU_DEP_1)
	v_fma_f32 v13, -v9, v12, v11
	v_fmac_f32_e32 v12, v13, v10
	s_delay_alu instid0(VALU_DEP_1) | instskip(NEXT) | instid1(VALU_DEP_1)
	v_fma_f32 v9, -v9, v12, v11
	v_div_fmas_f32 v9, v9, v10, v12
	s_delay_alu instid0(VALU_DEP_1)
	v_div_fixup_f32 v10, v9, v6, 1.0
.LBB0_26:
	v_mad_u32 v9, s34, s38, v70
	v_dual_mov_b32 v19, 0 :: v_dual_lshrrev_b32 v11, 16, v114
	v_dual_lshrrev_b32 v17, 16, v113 :: v_dual_lshrrev_b32 v21, 16, v112
	v_cvt_f32_f16_e32 v12, v111
	v_cvt_f32_f16_e32 v14, v114
	s_delay_alu instid0(VALU_DEP_4)
	v_cvt_f32_f16_e32 v15, v11
	v_cvt_f32_f16_e32 v16, v113
	;; [unrolled: 1-line block ×4, first 2 shown]
	v_mad_u32 v8, v9, s39, v8
	v_cvt_f32_f16_e32 v21, v21
	v_cmp_eq_u32_e32 vcc_lo, 0, v29
	v_pk_mul_f32 v[14:15], v[10:11], v[14:15] op_sel_hi:[0,1]
	v_pk_mul_f32 v[16:17], v[10:11], v[16:17] op_sel_hi:[0,1]
	s_and_b32 s1, vcc_lo, s1
	v_mad_u32 v9, s0, v8, s41
	v_lshrrev_b32_e32 v8, 16, v111
	s_delay_alu instid0(VALU_DEP_1) | instskip(NEXT) | instid1(VALU_DEP_1)
	v_cvt_f32_f16_e32 v13, v8
	v_pk_mul_f32 v[12:13], v[10:11], v[12:13] op_sel_hi:[0,1]
	s_delay_alu instid0(VALU_DEP_4) | instskip(NEXT) | instid1(VALU_DEP_1)
	v_lshl_add_u32 v18, v9, 8, v71
	v_lshl_add_u64 v[22:23], v[18:19], 2, s[28:29]
	v_add_nc_u32_e32 v18, 0x80, v18
	s_delay_alu instid0(VALU_DEP_1)
	v_lshl_add_u64 v[24:25], v[18:19], 2, s[28:29]
	v_pk_mul_f32 v[18:19], v[10:11], v[20:21] op_sel_hi:[0,1]
	s_clause 0x1
	global_store_b128 v[22:23], v[12:15], off
	global_store_b128 v[24:25], v[16:19], off
	s_wait_xcnt 0x0
	s_and_saveexec_b32 s3, s1
	s_cbranch_execz .LBB0_28
; %bb.27:
	v_dual_mov_b32 v10, v0 :: v_dual_mov_b32 v11, v6
	global_store_b64 v9, v[10:11], s[30:31] scale_offset
.LBB0_28:
	s_wait_xcnt 0x0
	s_or_b32 exec_lo, exec_lo, s3
	v_cndmask_b32_e64 v8, 0, 1, s2
	v_mov_b32_e32 v0, 1.0
	s_and_not1_b32 vcc_lo, exec_lo, s2
	s_cbranch_vccnz .LBB0_30
; %bb.29:
	v_div_scale_f32 v0, null, v7, v7, 1.0
	s_delay_alu instid0(VALU_DEP_1) | instskip(SKIP_1) | instid1(TRANS32_DEP_1)
	v_rcp_f32_e32 v6, v0
	v_nop
	v_fma_f32 v10, -v0, v6, 1.0
	s_delay_alu instid0(VALU_DEP_1) | instskip(SKIP_1) | instid1(VALU_DEP_1)
	v_fmac_f32_e32 v6, v10, v6
	v_div_scale_f32 v10, vcc_lo, 1.0, v7, 1.0
	v_mul_f32_e32 v11, v10, v6
	s_delay_alu instid0(VALU_DEP_1) | instskip(NEXT) | instid1(VALU_DEP_1)
	v_fma_f32 v12, -v0, v11, v10
	v_fmac_f32_e32 v11, v12, v6
	s_delay_alu instid0(VALU_DEP_1) | instskip(NEXT) | instid1(VALU_DEP_1)
	v_fma_f32 v0, -v0, v11, v10
	v_div_fmas_f32 v0, v0, v6, v11
	s_delay_alu instid0(VALU_DEP_1)
	v_div_fixup_f32 v0, v0, v7, 1.0
.LBB0_30:
	v_dual_add_nc_u32 v9, s0, v9 :: v_dual_mov_b32 v15, 0
	v_dual_lshrrev_b32 v6, 16, v107 :: v_dual_lshrrev_b32 v12, 16, v110
	v_dual_lshrrev_b32 v16, 16, v109 :: v_dual_lshrrev_b32 v20, 16, v108
	s_delay_alu instid0(VALU_DEP_3) | instskip(SKIP_1) | instid1(VALU_DEP_4)
	v_lshl_add_u32 v14, v9, 8, v71
	v_cvt_f32_f16_e32 v10, v107
	v_cvt_f32_f16_e32 v11, v6
	;; [unrolled: 1-line block ×4, first 2 shown]
	v_lshl_add_u64 v[18:19], v[14:15], 2, s[28:29]
	v_add_nc_u32_e32 v14, 0x80, v14
	v_cvt_f32_f16_e32 v17, v16
	v_cvt_f32_f16_e32 v16, v109
	;; [unrolled: 1-line block ×4, first 2 shown]
	v_pk_mul_f32 v[10:11], v[0:1], v[10:11] op_sel_hi:[0,1]
	v_pk_mul_f32 v[12:13], v[0:1], v[12:13] op_sel_hi:[0,1]
	v_lshl_add_u64 v[22:23], v[14:15], 2, s[28:29]
	v_pk_mul_f32 v[14:15], v[0:1], v[16:17] op_sel_hi:[0,1]
	v_pk_mul_f32 v[16:17], v[0:1], v[20:21] op_sel_hi:[0,1]
	s_clause 0x1
	global_store_b128 v[18:19], v[10:13], off
	global_store_b128 v[22:23], v[14:17], off
	s_wait_xcnt 0x0
	s_and_saveexec_b32 s2, s1
	s_cbranch_execz .LBB0_32
; %bb.31:
	v_mov_b32_e32 v6, v1
	global_store_b64 v9, v[6:7], s[30:31] scale_offset
.LBB0_32:
	s_wait_xcnt 0x0
	s_or_b32 exec_lo, exec_lo, s2
	v_cmp_ne_u32_e32 vcc_lo, 1, v8
	v_mov_b32_e32 v0, 1.0
	s_cbranch_vccnz .LBB0_34
; %bb.33:
	v_div_scale_f32 v0, null, v4, v4, 1.0
	s_delay_alu instid0(VALU_DEP_1) | instskip(SKIP_1) | instid1(TRANS32_DEP_1)
	v_rcp_f32_e32 v1, v0
	v_nop
	v_fma_f32 v6, -v0, v1, 1.0
	s_delay_alu instid0(VALU_DEP_1) | instskip(SKIP_1) | instid1(VALU_DEP_1)
	v_fmac_f32_e32 v1, v6, v1
	v_div_scale_f32 v6, vcc_lo, 1.0, v4, 1.0
	v_mul_f32_e32 v7, v6, v1
	s_delay_alu instid0(VALU_DEP_1) | instskip(NEXT) | instid1(VALU_DEP_1)
	v_fma_f32 v10, -v0, v7, v6
	v_fmac_f32_e32 v7, v10, v1
	s_delay_alu instid0(VALU_DEP_1) | instskip(NEXT) | instid1(VALU_DEP_1)
	v_fma_f32 v0, -v0, v7, v6
	v_div_fmas_f32 v0, v0, v1, v7
	s_delay_alu instid0(VALU_DEP_1)
	v_div_fixup_f32 v0, v0, v4, 1.0
.LBB0_34:
	v_dual_add_nc_u32 v1, s0, v9 :: v_dual_mov_b32 v7, 0
	v_dual_lshrrev_b32 v9, 16, v104 :: v_dual_lshrrev_b32 v12, 16, v106
	v_dual_lshrrev_b32 v14, 16, v105 :: v_dual_lshrrev_b32 v16, 16, v103
	s_delay_alu instid0(VALU_DEP_3) | instskip(SKIP_1) | instid1(VALU_DEP_4)
	v_lshl_add_u32 v6, v1, 8, v71
	v_cvt_f32_f16_e32 v10, v104
	v_cvt_f32_f16_e32 v11, v9
	;; [unrolled: 1-line block ×4, first 2 shown]
	v_lshl_add_u64 v[18:19], v[6:7], 2, s[28:29]
	v_add_nc_u32_e32 v6, 0x80, v6
	v_cvt_f32_f16_e32 v15, v14
	v_cvt_f32_f16_e32 v14, v105
	;; [unrolled: 1-line block ×4, first 2 shown]
	v_pk_mul_f32 v[10:11], v[0:1], v[10:11] op_sel_hi:[0,1]
	v_pk_mul_f32 v[12:13], v[0:1], v[12:13] op_sel_hi:[0,1]
	v_lshl_add_u64 v[6:7], v[6:7], 2, s[28:29]
	v_pk_mul_f32 v[14:15], v[0:1], v[14:15] op_sel_hi:[0,1]
	v_pk_mul_f32 v[16:17], v[0:1], v[16:17] op_sel_hi:[0,1]
	s_clause 0x1
	global_store_b128 v[18:19], v[10:13], off
	global_store_b128 v[6:7], v[14:17], off
	s_wait_xcnt 0x0
	s_and_saveexec_b32 s2, s1
	s_cbranch_execz .LBB0_36
; %bb.35:
	v_dual_mov_b32 v6, v2 :: v_dual_mov_b32 v7, v4
	global_store_b64 v1, v[6:7], s[30:31] scale_offset
.LBB0_36:
	s_wait_xcnt 0x0
	s_or_b32 exec_lo, exec_lo, s2
	v_cmp_ne_u32_e32 vcc_lo, 1, v8
	v_mov_b32_e32 v0, 1.0
	s_cbranch_vccnz .LBB0_38
; %bb.37:
	v_div_scale_f32 v0, null, v5, v5, 1.0
	s_delay_alu instid0(VALU_DEP_1) | instskip(SKIP_1) | instid1(TRANS32_DEP_1)
	v_rcp_f32_e32 v2, v0
	v_nop
	v_fma_f32 v4, -v0, v2, 1.0
	s_delay_alu instid0(VALU_DEP_1) | instskip(SKIP_1) | instid1(VALU_DEP_1)
	v_fmac_f32_e32 v2, v4, v2
	v_div_scale_f32 v4, vcc_lo, 1.0, v5, 1.0
	v_mul_f32_e32 v6, v4, v2
	s_delay_alu instid0(VALU_DEP_1) | instskip(NEXT) | instid1(VALU_DEP_1)
	v_fma_f32 v7, -v0, v6, v4
	v_fmac_f32_e32 v6, v7, v2
	s_delay_alu instid0(VALU_DEP_1) | instskip(NEXT) | instid1(VALU_DEP_1)
	v_fma_f32 v0, -v0, v6, v4
	v_div_fmas_f32 v0, v0, v2, v6
	s_delay_alu instid0(VALU_DEP_1)
	v_div_fixup_f32 v0, v0, v5, 1.0
.LBB0_38:
	v_dual_add_nc_u32 v1, s0, v1 :: v_dual_mov_b32 v11, 0
	v_dual_lshrrev_b32 v2, 16, v102 :: v_dual_lshrrev_b32 v4, 16, v101
	v_dual_lshrrev_b32 v12, 16, v100 :: v_dual_lshrrev_b32 v16, 16, v99
	s_delay_alu instid0(VALU_DEP_3) | instskip(SKIP_1) | instid1(VALU_DEP_4)
	v_lshl_add_u32 v10, v1, 8, v71
	v_cvt_f32_f16_e32 v6, v102
	v_cvt_f32_f16_e32 v7, v2
	;; [unrolled: 1-line block ×4, first 2 shown]
	v_lshl_add_u64 v[14:15], v[10:11], 2, s[28:29]
	v_add_nc_u32_e32 v10, 0x80, v10
	v_cvt_f32_f16_e32 v13, v12
	v_cvt_f32_f16_e32 v12, v100
	;; [unrolled: 1-line block ×4, first 2 shown]
	v_pk_mul_f32 v[6:7], v[0:1], v[6:7] op_sel_hi:[0,1]
	v_pk_mul_f32 v[8:9], v[0:1], v[8:9] op_sel_hi:[0,1]
	v_lshl_add_u64 v[18:19], v[10:11], 2, s[28:29]
	v_pk_mul_f32 v[10:11], v[0:1], v[12:13] op_sel_hi:[0,1]
	v_pk_mul_f32 v[12:13], v[0:1], v[16:17] op_sel_hi:[0,1]
	s_clause 0x1
	global_store_b128 v[14:15], v[6:9], off
	global_store_b128 v[18:19], v[10:13], off
	s_wait_xcnt 0x0
	s_and_saveexec_b32 s0, s1
	s_cbranch_execz .LBB0_40
; %bb.39:
	v_mov_b32_e32 v4, v3
	global_store_b64 v1, v[4:5], s[30:31] scale_offset
.LBB0_40:
	s_sendmsg sendmsg(MSG_DEALLOC_VGPRS)
	s_endpgm
	.section	.rodata,"a",@progbits
	.p2align	6, 0x0
	.amdhsa_kernel _ZL15flash_attn_tileILi320ELi256ELi1ELi32ELb0EEvPKcS1_S1_S1_S1_PKiPfP15HIP_vector_typeIfLj2EEffffjfiS5_IjLj3EEiiiiiiiiiiiliiliiiiil
		.amdhsa_group_segment_fixed_size 47104
		.amdhsa_private_segment_fixed_size 0
		.amdhsa_kernarg_size 464
		.amdhsa_user_sgpr_count 2
		.amdhsa_user_sgpr_dispatch_ptr 0
		.amdhsa_user_sgpr_queue_ptr 0
		.amdhsa_user_sgpr_kernarg_segment_ptr 1
		.amdhsa_user_sgpr_dispatch_id 0
		.amdhsa_user_sgpr_kernarg_preload_length 0
		.amdhsa_user_sgpr_kernarg_preload_offset 0
		.amdhsa_user_sgpr_private_segment_size 0
		.amdhsa_wavefront_size32 1
		.amdhsa_uses_dynamic_stack 0
		.amdhsa_enable_private_segment 0
		.amdhsa_system_sgpr_workgroup_id_x 1
		.amdhsa_system_sgpr_workgroup_id_y 1
		.amdhsa_system_sgpr_workgroup_id_z 1
		.amdhsa_system_sgpr_workgroup_info 0
		.amdhsa_system_vgpr_workitem_id 1
		.amdhsa_next_free_vgpr 163
		.amdhsa_next_free_sgpr 50
		.amdhsa_named_barrier_count 0
		.amdhsa_reserve_vcc 1
		.amdhsa_float_round_mode_32 0
		.amdhsa_float_round_mode_16_64 0
		.amdhsa_float_denorm_mode_32 3
		.amdhsa_float_denorm_mode_16_64 3
		.amdhsa_fp16_overflow 0
		.amdhsa_memory_ordered 1
		.amdhsa_forward_progress 1
		.amdhsa_inst_pref_size 255
		.amdhsa_round_robin_scheduling 0
		.amdhsa_exception_fp_ieee_invalid_op 0
		.amdhsa_exception_fp_denorm_src 0
		.amdhsa_exception_fp_ieee_div_zero 0
		.amdhsa_exception_fp_ieee_overflow 0
		.amdhsa_exception_fp_ieee_underflow 0
		.amdhsa_exception_fp_ieee_inexact 0
		.amdhsa_exception_int_div_zero 0
	.end_amdhsa_kernel
	.section	.text._ZL15flash_attn_tileILi320ELi256ELi1ELi32ELb0EEvPKcS1_S1_S1_S1_PKiPfP15HIP_vector_typeIfLj2EEffffjfiS5_IjLj3EEiiiiiiiiiiiliiliiiiil,"axG",@progbits,_ZL15flash_attn_tileILi320ELi256ELi1ELi32ELb0EEvPKcS1_S1_S1_S1_PKiPfP15HIP_vector_typeIfLj2EEffffjfiS5_IjLj3EEiiiiiiiiiiiliiliiiiil,comdat
.Lfunc_end0:
	.size	_ZL15flash_attn_tileILi320ELi256ELi1ELi32ELb0EEvPKcS1_S1_S1_S1_PKiPfP15HIP_vector_typeIfLj2EEffffjfiS5_IjLj3EEiiiiiiiiiiiliiliiiiil, .Lfunc_end0-_ZL15flash_attn_tileILi320ELi256ELi1ELi32ELb0EEvPKcS1_S1_S1_S1_PKiPfP15HIP_vector_typeIfLj2EEffffjfiS5_IjLj3EEiiiiiiiiiiiliiliiiiil
                                        ; -- End function
	.set _ZL15flash_attn_tileILi320ELi256ELi1ELi32ELb0EEvPKcS1_S1_S1_S1_PKiPfP15HIP_vector_typeIfLj2EEffffjfiS5_IjLj3EEiiiiiiiiiiiliiliiiiil.num_vgpr, 163
	.set _ZL15flash_attn_tileILi320ELi256ELi1ELi32ELb0EEvPKcS1_S1_S1_S1_PKiPfP15HIP_vector_typeIfLj2EEffffjfiS5_IjLj3EEiiiiiiiiiiiliiliiiiil.num_agpr, 0
	.set _ZL15flash_attn_tileILi320ELi256ELi1ELi32ELb0EEvPKcS1_S1_S1_S1_PKiPfP15HIP_vector_typeIfLj2EEffffjfiS5_IjLj3EEiiiiiiiiiiiliiliiiiil.numbered_sgpr, 50
	.set _ZL15flash_attn_tileILi320ELi256ELi1ELi32ELb0EEvPKcS1_S1_S1_S1_PKiPfP15HIP_vector_typeIfLj2EEffffjfiS5_IjLj3EEiiiiiiiiiiiliiliiiiil.num_named_barrier, 0
	.set _ZL15flash_attn_tileILi320ELi256ELi1ELi32ELb0EEvPKcS1_S1_S1_S1_PKiPfP15HIP_vector_typeIfLj2EEffffjfiS5_IjLj3EEiiiiiiiiiiiliiliiiiil.private_seg_size, 0
	.set _ZL15flash_attn_tileILi320ELi256ELi1ELi32ELb0EEvPKcS1_S1_S1_S1_PKiPfP15HIP_vector_typeIfLj2EEffffjfiS5_IjLj3EEiiiiiiiiiiiliiliiiiil.uses_vcc, 1
	.set _ZL15flash_attn_tileILi320ELi256ELi1ELi32ELb0EEvPKcS1_S1_S1_S1_PKiPfP15HIP_vector_typeIfLj2EEffffjfiS5_IjLj3EEiiiiiiiiiiiliiliiiiil.uses_flat_scratch, 0
	.set _ZL15flash_attn_tileILi320ELi256ELi1ELi32ELb0EEvPKcS1_S1_S1_S1_PKiPfP15HIP_vector_typeIfLj2EEffffjfiS5_IjLj3EEiiiiiiiiiiiliiliiiiil.has_dyn_sized_stack, 0
	.set _ZL15flash_attn_tileILi320ELi256ELi1ELi32ELb0EEvPKcS1_S1_S1_S1_PKiPfP15HIP_vector_typeIfLj2EEffffjfiS5_IjLj3EEiiiiiiiiiiiliiliiiiil.has_recursion, 0
	.set _ZL15flash_attn_tileILi320ELi256ELi1ELi32ELb0EEvPKcS1_S1_S1_S1_PKiPfP15HIP_vector_typeIfLj2EEffffjfiS5_IjLj3EEiiiiiiiiiiiliiliiiiil.has_indirect_call, 0
	.section	.AMDGPU.csdata,"",@progbits
; Kernel info:
; codeLenInByte = 40984
; TotalNumSgprs: 52
; NumVgprs: 163
; ScratchSize: 0
; MemoryBound: 0
; FloatMode: 240
; IeeeMode: 1
; LDSByteSize: 47104 bytes/workgroup (compile time only)
; SGPRBlocks: 0
; VGPRBlocks: 10
; NumSGPRsForWavesPerEU: 52
; NumVGPRsForWavesPerEU: 163
; NamedBarCnt: 0
; Occupancy: 5
; WaveLimiterHint : 1
; COMPUTE_PGM_RSRC2:SCRATCH_EN: 0
; COMPUTE_PGM_RSRC2:USER_SGPR: 2
; COMPUTE_PGM_RSRC2:TRAP_HANDLER: 0
; COMPUTE_PGM_RSRC2:TGID_X_EN: 1
; COMPUTE_PGM_RSRC2:TGID_Y_EN: 1
; COMPUTE_PGM_RSRC2:TGID_Z_EN: 1
; COMPUTE_PGM_RSRC2:TIDIG_COMP_CNT: 1
	.section	.text._ZL25flash_attn_mask_to_KV_maxILi1EEvPK7__half2Piiii,"axG",@progbits,_ZL25flash_attn_mask_to_KV_maxILi1EEvPK7__half2Piiii,comdat
	.globl	_ZL25flash_attn_mask_to_KV_maxILi1EEvPK7__half2Piiii ; -- Begin function _ZL25flash_attn_mask_to_KV_maxILi1EEvPK7__half2Piiii
	.p2align	8
	.type	_ZL25flash_attn_mask_to_KV_maxILi1EEvPK7__half2Piiii,@function
_ZL25flash_attn_mask_to_KV_maxILi1EEvPK7__half2Piiii: ; @_ZL25flash_attn_mask_to_KV_maxILi1EEvPK7__half2Piiii
; %bb.0:
	s_load_b128 s[4:7], s[0:1], 0x0
	s_mov_b32 s2, exec_lo
	v_cmpx_gt_u32_e32 32, v0
; %bb.1:
	v_dual_mov_b32 v2, 1 :: v_dual_lshlrev_b32 v1, 2, v0
	ds_store_b32 v1, v2
; %bb.2:
	s_or_b32 exec_lo, exec_lo, s2
	s_clause 0x1
	s_load_b96 s[8:10], s[0:1], 0x10
	s_load_b32 s11, s[0:1], 0x20
	s_wait_xcnt 0x0
	s_bfe_u32 s1, ttmp6, 0x4000c
	s_bfe_u32 s2, ttmp6, 0x40010
	s_add_co_i32 s1, s1, 1
	s_add_co_i32 s2, s2, 1
	s_and_b32 s0, ttmp6, 15
	s_bfe_u32 s3, ttmp6, 0x40004
	s_mul_i32 s1, ttmp9, s1
	s_mul_i32 s2, ttmp7, s2
	s_getreg_b32 s12, hwreg(HW_REG_IB_STS2, 6, 4)
	s_add_co_i32 s0, s0, s1
	s_add_co_i32 s3, s3, s2
	s_cmp_eq_u32 s12, 0
	v_dual_lshrrev_b32 v1, 3, v0 :: v_dual_bitop2_b32 v2, 31, v0 bitop3:0x40
	s_cselect_b32 s1, ttmp7, s3
	s_cselect_b32 s12, ttmp9, s0
	s_wait_dscnt 0x0
	s_barrier_signal -1
	s_wait_kmcnt 0x0
	s_mul_i32 s0, s10, s1
	s_mul_i32 s2, s9, s12
	s_barrier_wait -1
	s_add_co_i32 s2, s0, s2
	v_cmp_eq_u32_e64 s0, 0, v2
	s_ashr_i32 s3, s2, 31
	v_lshlrev_b32_e32 v2, 2, v2
	s_lshl_b64 s[2:3], s[2:3], 2
	s_delay_alu instid0(SALU_CYCLE_1)
	s_add_nc_u64 s[2:3], s[4:5], s[2:3]
	s_lshl_b32 s5, s8, 8
	s_branch .LBB1_4
.LBB1_3:                                ;   in Loop: Header=BB1_4 Depth=1
	s_or_b32 exec_lo, exec_lo, s9
	s_wait_dscnt 0x0
	s_barrier_signal -1
	s_barrier_wait -1
	ds_load_b32 v3, v2
	s_wait_dscnt 0x0
	s_barrier_signal -1
	s_barrier_wait -1
	v_cmp_ne_u32_e32 vcc_lo, 0, v3
	s_cmp_lg_u32 vcc_lo, exec_lo
	s_cselect_b32 s8, -1, 0
	s_delay_alu instid0(SALU_CYCLE_1)
	s_and_b32 vcc_lo, exec_lo, s8
	s_cbranch_vccnz .LBB1_8
.LBB1_4:                                ; =>This Inner Loop Header: Depth=1
	s_mov_b32 s4, s5
	s_addk_co_i32 s5, 0xff00
	s_delay_alu instid0(SALU_CYCLE_1)
	s_cmp_lt_i32 s5, 0
	s_cbranch_scc1 .LBB1_7
; %bb.5:                                ;   in Loop: Header=BB1_4 Depth=1
	s_lshr_b32 s9, s5, 1
	s_mov_b32 s8, exec_lo
	v_add_nc_u32_e32 v3, s9, v0
	global_load_b32 v3, v3, s[2:3] scale_offset
	s_wait_loadcnt 0x0
	v_lshrrev_b32_e32 v4, 16, v3
	v_cmp_class_f16_e64 s9, v3, 0x204
	s_delay_alu instid0(VALU_DEP_2) | instskip(SKIP_1) | instid1(SALU_CYCLE_1)
	v_cmp_class_f16_e64 s10, v4, 0x204
	s_and_b32 s9, s9, s10
	v_cndmask_b32_e64 v3, 0, 1, s9
	s_delay_alu instid0(VALU_DEP_1)
	v_cmp_ne_u32_e32 vcc_lo, 0, v3
	s_and_saveexec_b32 s9, s0
	s_cbranch_execz .LBB1_3
; %bb.6:                                ;   in Loop: Header=BB1_4 Depth=1
	s_cmp_eq_u32 vcc_lo, s8
	s_cselect_b32 s8, -1, 0
	s_delay_alu instid0(SALU_CYCLE_1)
	v_cndmask_b32_e64 v3, 0, 1, s8
	ds_store_b32 v1, v3
	s_branch .LBB1_3
.LBB1_7:                                ;   in Loop: Header=BB1_4 Depth=1
	s_cbranch_execz .LBB1_4
.LBB1_8:
	s_mov_b32 s0, exec_lo
	v_cmpx_eq_u32_e32 0, v0
	s_cbranch_execz .LBB1_10
; %bb.9:
	s_mul_i32 s0, s11, s1
	v_mov_b32_e32 v1, s4
	s_add_co_i32 s0, s0, s12
	s_delay_alu instid0(SALU_CYCLE_1)
	v_mov_b32_e32 v0, s0
	global_store_b32 v0, v1, s[6:7] scale_offset
.LBB1_10:
	s_endpgm
	.section	.rodata,"a",@progbits
	.p2align	6, 0x0
	.amdhsa_kernel _ZL25flash_attn_mask_to_KV_maxILi1EEvPK7__half2Piiii
		.amdhsa_group_segment_fixed_size 128
		.amdhsa_private_segment_fixed_size 0
		.amdhsa_kernarg_size 288
		.amdhsa_user_sgpr_count 2
		.amdhsa_user_sgpr_dispatch_ptr 0
		.amdhsa_user_sgpr_queue_ptr 0
		.amdhsa_user_sgpr_kernarg_segment_ptr 1
		.amdhsa_user_sgpr_dispatch_id 0
		.amdhsa_user_sgpr_kernarg_preload_length 0
		.amdhsa_user_sgpr_kernarg_preload_offset 0
		.amdhsa_user_sgpr_private_segment_size 0
		.amdhsa_wavefront_size32 1
		.amdhsa_uses_dynamic_stack 0
		.amdhsa_enable_private_segment 0
		.amdhsa_system_sgpr_workgroup_id_x 1
		.amdhsa_system_sgpr_workgroup_id_y 1
		.amdhsa_system_sgpr_workgroup_id_z 0
		.amdhsa_system_sgpr_workgroup_info 0
		.amdhsa_system_vgpr_workitem_id 0
		.amdhsa_next_free_vgpr 5
		.amdhsa_next_free_sgpr 13
		.amdhsa_named_barrier_count 0
		.amdhsa_reserve_vcc 1
		.amdhsa_float_round_mode_32 0
		.amdhsa_float_round_mode_16_64 0
		.amdhsa_float_denorm_mode_32 3
		.amdhsa_float_denorm_mode_16_64 3
		.amdhsa_fp16_overflow 0
		.amdhsa_memory_ordered 1
		.amdhsa_forward_progress 1
		.amdhsa_inst_pref_size 4
		.amdhsa_round_robin_scheduling 0
		.amdhsa_exception_fp_ieee_invalid_op 0
		.amdhsa_exception_fp_denorm_src 0
		.amdhsa_exception_fp_ieee_div_zero 0
		.amdhsa_exception_fp_ieee_overflow 0
		.amdhsa_exception_fp_ieee_underflow 0
		.amdhsa_exception_fp_ieee_inexact 0
		.amdhsa_exception_int_div_zero 0
	.end_amdhsa_kernel
	.section	.text._ZL25flash_attn_mask_to_KV_maxILi1EEvPK7__half2Piiii,"axG",@progbits,_ZL25flash_attn_mask_to_KV_maxILi1EEvPK7__half2Piiii,comdat
.Lfunc_end1:
	.size	_ZL25flash_attn_mask_to_KV_maxILi1EEvPK7__half2Piiii, .Lfunc_end1-_ZL25flash_attn_mask_to_KV_maxILi1EEvPK7__half2Piiii
                                        ; -- End function
	.set _ZL25flash_attn_mask_to_KV_maxILi1EEvPK7__half2Piiii.num_vgpr, 5
	.set _ZL25flash_attn_mask_to_KV_maxILi1EEvPK7__half2Piiii.num_agpr, 0
	.set _ZL25flash_attn_mask_to_KV_maxILi1EEvPK7__half2Piiii.numbered_sgpr, 13
	.set _ZL25flash_attn_mask_to_KV_maxILi1EEvPK7__half2Piiii.num_named_barrier, 0
	.set _ZL25flash_attn_mask_to_KV_maxILi1EEvPK7__half2Piiii.private_seg_size, 0
	.set _ZL25flash_attn_mask_to_KV_maxILi1EEvPK7__half2Piiii.uses_vcc, 1
	.set _ZL25flash_attn_mask_to_KV_maxILi1EEvPK7__half2Piiii.uses_flat_scratch, 0
	.set _ZL25flash_attn_mask_to_KV_maxILi1EEvPK7__half2Piiii.has_dyn_sized_stack, 0
	.set _ZL25flash_attn_mask_to_KV_maxILi1EEvPK7__half2Piiii.has_recursion, 0
	.set _ZL25flash_attn_mask_to_KV_maxILi1EEvPK7__half2Piiii.has_indirect_call, 0
	.section	.AMDGPU.csdata,"",@progbits
; Kernel info:
; codeLenInByte = 456
; TotalNumSgprs: 15
; NumVgprs: 5
; ScratchSize: 0
; MemoryBound: 0
; FloatMode: 240
; IeeeMode: 1
; LDSByteSize: 128 bytes/workgroup (compile time only)
; SGPRBlocks: 0
; VGPRBlocks: 0
; NumSGPRsForWavesPerEU: 15
; NumVGPRsForWavesPerEU: 5
; NamedBarCnt: 0
; Occupancy: 16
; WaveLimiterHint : 0
; COMPUTE_PGM_RSRC2:SCRATCH_EN: 0
; COMPUTE_PGM_RSRC2:USER_SGPR: 2
; COMPUTE_PGM_RSRC2:TRAP_HANDLER: 0
; COMPUTE_PGM_RSRC2:TGID_X_EN: 1
; COMPUTE_PGM_RSRC2:TGID_Y_EN: 1
; COMPUTE_PGM_RSRC2:TGID_Z_EN: 0
; COMPUTE_PGM_RSRC2:TIDIG_COMP_CNT: 0
	.section	.text._ZL33flash_attn_stream_k_fixup_uniformILi256ELi1ELi32EEvPfPK15HIP_vector_typeIfLj2EEiiiiiiS1_IjLj3EES5_S5_,"axG",@progbits,_ZL33flash_attn_stream_k_fixup_uniformILi256ELi1ELi32EEvPfPK15HIP_vector_typeIfLj2EEiiiiiiS1_IjLj3EES5_S5_,comdat
	.globl	_ZL33flash_attn_stream_k_fixup_uniformILi256ELi1ELi32EEvPfPK15HIP_vector_typeIfLj2EEiiiiiiS1_IjLj3EES5_S5_ ; -- Begin function _ZL33flash_attn_stream_k_fixup_uniformILi256ELi1ELi32EEvPfPK15HIP_vector_typeIfLj2EEiiiiiiS1_IjLj3EES5_S5_
	.p2align	8
	.type	_ZL33flash_attn_stream_k_fixup_uniformILi256ELi1ELi32EEvPfPK15HIP_vector_typeIfLj2EEiiiiiiS1_IjLj3EES5_S5_,@function
_ZL33flash_attn_stream_k_fixup_uniformILi256ELi1ELi32EEvPfPK15HIP_vector_typeIfLj2EEiiiiiiS1_IjLj3EES5_S5_: ; @_ZL33flash_attn_stream_k_fixup_uniformILi256ELi1ELi32EEvPfPK15HIP_vector_typeIfLj2EEiiiiiiS1_IjLj3EES5_S5_
; %bb.0:
	s_load_b256 s[4:11], s[0:1], 0x1c
	s_bfe_u32 s2, ttmp6, 0x40014
	s_lshr_b32 s3, ttmp7, 16
	s_add_co_i32 s2, s2, 1
	s_bfe_u32 s13, ttmp6, 0x40010
	s_mul_i32 s2, s3, s2
	s_bfe_u32 s12, ttmp6, 0x40008
	s_and_b32 s15, ttmp7, 0xffff
	s_add_co_i32 s13, s13, 1
	s_bfe_u32 s14, ttmp6, 0x4000c
	s_add_co_i32 s12, s12, s2
	s_mul_i32 s2, s15, s13
	s_bfe_u32 s13, ttmp6, 0x40004
	s_add_co_i32 s14, s14, 1
	s_add_co_i32 s13, s13, s2
	s_and_b32 s2, ttmp6, 15
	s_mul_i32 s14, ttmp9, s14
	s_getreg_b32 s20, hwreg(HW_REG_IB_STS2, 6, 4)
	s_add_co_i32 s2, s2, s14
	s_load_b128 s[16:19], s[0:1], 0x3c
	s_cmp_eq_u32 s20, 0
	s_cselect_b32 s14, ttmp9, s2
	s_cselect_b32 s13, s15, s13
	s_wait_kmcnt 0x0
	s_mul_hi_u32 s2, s7, s14
	s_cselect_b32 s12, s3, s12
	s_add_co_i32 s2, s14, s2
	s_delay_alu instid0(SALU_CYCLE_1) | instskip(NEXT) | instid1(SALU_CYCLE_1)
	s_lshr_b32 s7, s2, s8
	s_mul_i32 s2, s7, s9
	s_delay_alu instid0(SALU_CYCLE_1) | instskip(SKIP_2) | instid1(SALU_CYCLE_1)
	s_sub_co_i32 s8, s14, s2
	s_load_b64 s[2:3], s[0:1], 0x10
	s_mul_hi_u32 s9, s8, s10
	s_add_co_i32 s9, s8, s9
	s_delay_alu instid0(SALU_CYCLE_1) | instskip(NEXT) | instid1(SALU_CYCLE_1)
	s_lshr_b32 s15, s9, s11
	s_mul_i32 s9, s15, s16
	s_delay_alu instid0(SALU_CYCLE_1) | instskip(NEXT) | instid1(SALU_CYCLE_1)
	s_sub_co_i32 s8, s8, s9
	s_mul_hi_u32 s9, s8, s17
	s_delay_alu instid0(SALU_CYCLE_1) | instskip(NEXT) | instid1(SALU_CYCLE_1)
	s_add_co_i32 s9, s8, s9
	s_lshr_b32 s9, s9, s18
	s_delay_alu instid0(SALU_CYCLE_1) | instskip(SKIP_2) | instid1(SALU_CYCLE_1)
	s_mul_i32 s10, s9, s19
	s_lshl_b32 s17, s9, 5
	s_sub_co_i32 s16, s8, s10
	s_add_co_i32 s16, s16, s13
	s_wait_kmcnt 0x0
	s_cmp_lt_i32 s16, s2
	s_cselect_b32 s8, -1, 0
	s_add_co_i32 s17, s17, s12
	s_delay_alu instid0(SALU_CYCLE_1) | instskip(SKIP_1) | instid1(SALU_CYCLE_1)
	s_cmp_lt_i32 s17, s5
	s_cselect_b32 s9, -1, 0
	s_and_b32 s8, s8, s9
	s_delay_alu instid0(SALU_CYCLE_1)
	s_and_not1_b32 vcc_lo, exec_lo, s8
	s_cbranch_vccnz .LBB2_6
; %bb.1:
	s_load_b128 s[8:11], s[0:1], 0x0
	s_mul_i32 s7, s7, s2
	s_mul_i32 s15, s15, s5
	s_wait_xcnt 0x0
	s_add_co_i32 s0, s16, s7
	s_add_co_i32 s1, s17, s15
	s_mul_i32 s0, s0, s3
	s_mul_i32 s7, s6, s14
	s_add_co_i32 s1, s1, s0
	s_add_co_i32 s5, s7, s6
	v_lshl_or_b32 v4, s1, 8, v0
	s_add_co_i32 s0, s13, s5
	s_add_co_i32 s2, s5, -2
	s_lshl_b32 s0, s0, 5
	s_delay_alu instid0(SALU_CYCLE_1) | instskip(SKIP_2) | instid1(SALU_CYCLE_1)
	s_add_co_i32 s0, s0, s12
	v_ashrrev_i32_e32 v5, 31, v4
	s_sub_co_i32 s0, s0, 32
	s_ashr_i32 s1, s0, 31
	s_delay_alu instid0(SALU_CYCLE_1)
	s_lshl_b64 s[0:1], s[0:1], 3
	s_wait_kmcnt 0x0
	global_load_b32 v3, v4, s[8:9] scale_offset
	s_add_nc_u64 s[0:1], s[10:11], s[0:1]
	s_cmp_lt_i32 s2, s7
	s_load_b32 s15, s[0:1], 0x4
	s_cbranch_scc1 .LBB2_4
; %bb.2:
	s_wait_xcnt 0x0
	s_load_b32 s0, s[0:1], 0x0
	s_add_co_i32 s14, s14, 1
	s_wait_xcnt 0x0
	s_lshl_b32 s1, s12, 8
	s_mul_i32 s3, s6, s14
	s_lshl_b32 s6, s13, 13
	s_lshl_b32 s14, s3, 13
	s_add_co_i32 s1, s1, s6
	s_lshl_b32 s2, s4, 7
	s_add_co_i32 s1, s1, s14
	s_add_co_i32 s4, s13, s4
	s_wait_kmcnt 0x0
	v_dual_mov_b32 v2, s15 :: v_dual_bitop2_b32 v0, s1, v0 bitop3:0x54
	s_add_co_i32 s4, s4, s5
	s_ashr_i32 s3, s2, 31
	s_lshl_b32 s1, s4, 5
	s_delay_alu instid0(VALU_DEP_1)
	v_add_nc_u32_e32 v0, 0xffffc000, v0
	s_lshl_b64 s[2:3], s[2:3], 2
	s_add_co_i32 s12, s12, s1
	s_add_nc_u64 s[2:3], s[10:11], s[2:3]
	s_add_co_i32 s1, s5, -1
	s_sub_co_i32 s4, s12, 64
.LBB2_3:                                ; =>This Inner Loop Header: Depth=1
	global_load_b32 v7, v0, s[2:3] scale_offset
	s_ashr_i32 s5, s4, 31
	v_max_num_f32_e64 v1, s0, s0
	s_lshl_b64 s[12:13], s[4:5], 3
	s_delay_alu instid0(SALU_CYCLE_1) | instskip(SKIP_1) | instid1(VALU_DEP_1)
	s_add_nc_u64 s[12:13], s[10:11], s[12:13]
	s_load_b64 s[12:13], s[12:13], 0x0
	v_readfirstlane_b32 s5, v1
	v_add_nc_u32_e32 v0, 0xffffe000, v0
	s_wait_kmcnt 0x0
	v_max_num_f32_e64 v1, s12, s12
	s_delay_alu instid0(VALU_DEP_1) | instskip(SKIP_1) | instid1(SALU_CYCLE_3)
	v_readfirstlane_b32 s6, v1
	s_max_num_f32 s5, s5, s6
	s_sub_f32 s0, s0, s5
	s_sub_f32 s6, s12, s5
	s_delay_alu instid0(SALU_CYCLE_2) | instskip(NEXT) | instid1(SALU_CYCLE_2)
	s_mul_f32 s12, s0, 0x3fb8aa3b
	s_mul_f32 s14, s6, 0x3fb8aa3b
	s_delay_alu instid0(SALU_CYCLE_2)
	s_xor_b32 s15, s12, 0x80000000
	s_rndne_f32 s16, s12
	s_fmamk_f32 s15, s0, 0x3fb8aa3b, s15
	s_cmp_nlt_f32 s0, 0xc2ce8ed0
	s_rndne_f32 s17, s14
	s_sub_f32 s12, s12, s16
	s_fmamk_f32 s15, s0, 0x32a5705f, s15
	s_cselect_b32 vcc_lo, -1, 0
	s_cmp_ngt_f32 s0, 0x42b17218
	s_delay_alu instid0(SALU_CYCLE_1) | instskip(SKIP_2) | instid1(SALU_CYCLE_1)
	s_add_f32 s12, s12, s15
	s_cvt_i32_f32 s15, s16
	s_sub_f32 s16, s14, s17
	v_s_exp_f32 s12, s12
	v_nop
	s_delay_alu instid0(TRANS32_DEP_1) | instskip(SKIP_1) | instid1(VALU_DEP_1)
	v_ldexp_f32 v1, s12, s15
	s_cvt_i32_f32 s12, s17
	v_cndmask_b32_e32 v1, 0, v1, vcc_lo
	s_cselect_b32 vcc_lo, -1, 0
	s_cmp_ge_f32 s0, 0xc1a00000
	s_delay_alu instid0(VALU_DEP_1)
	v_cndmask_b32_e32 v1, 0x7f800000, v1, vcc_lo
	s_cselect_b32 vcc_lo, -1, 0
	s_xor_b32 s0, s14, 0x80000000
	s_cmp_nlt_f32 s6, 0xc2ce8ed0
	s_fmamk_f32 s0, s6, 0x3fb8aa3b, s0
	v_cndmask_b32_e32 v10, 0, v1, vcc_lo
	s_delay_alu instid0(SALU_CYCLE_2) | instskip(NEXT) | instid1(SALU_CYCLE_3)
	s_fmamk_f32 s0, s6, 0x32a5705f, s0
	s_add_f32 s0, s16, s0
	s_delay_alu instid0(SALU_CYCLE_3) | instskip(SKIP_1) | instid1(TRANS32_DEP_1)
	v_s_exp_f32 s0, s0
	v_nop
	v_ldexp_f32 v6, s0, s12
	s_cselect_b32 s0, -1, 0
	s_cmp_ngt_f32 s6, 0x42b17218
	s_delay_alu instid0(VALU_DEP_1) | instskip(SKIP_2) | instid1(VALU_DEP_1)
	v_cndmask_b32_e64 v6, 0, v6, s0
	s_cselect_b32 s0, -1, 0
	s_cmp_ge_f32 s6, 0xc1a00000
	v_cndmask_b32_e64 v8, 0x7f800000, v6, s0
	s_cselect_b32 s0, -1, 0
	v_mov_b32_e32 v6, s13
	s_add_co_i32 s1, s1, -1
	s_sub_co_i32 s4, s4, 32
	v_cndmask_b32_e64 v8, 0, v8, s0
	s_cmp_le_i32 s1, s7
	s_mov_b32 s0, s5
	s_wait_loadcnt 0x0
	s_delay_alu instid0(VALU_DEP_1) | instskip(NEXT) | instid1(VALU_DEP_1)
	v_pk_mul_f32 v[6:7], v[6:7], v[8:9] op_sel_hi:[1,0]
	v_pk_fma_f32 v[2:3], v[2:3], v[10:11], v[6:7] op_sel_hi:[1,0,1]
	s_cbranch_scc0 .LBB2_3
	s_branch .LBB2_5
.LBB2_4:
	s_wait_kmcnt 0x0
	v_mov_b32_e32 v2, s15
.LBB2_5:
	v_lshl_add_u64 v[0:1], v[4:5], 2, s[8:9]
	s_wait_loadcnt 0x0
	s_delay_alu instid0(VALU_DEP_2) | instskip(NEXT) | instid1(VALU_DEP_1)
	v_div_scale_f32 v4, null, v2, v2, v3
	v_rcp_f32_e32 v5, v4
	v_nop
	s_delay_alu instid0(TRANS32_DEP_1) | instskip(NEXT) | instid1(VALU_DEP_1)
	v_fma_f32 v6, -v4, v5, 1.0
	v_fmac_f32_e32 v5, v6, v5
	v_div_scale_f32 v6, vcc_lo, v3, v2, v3
	s_delay_alu instid0(VALU_DEP_1) | instskip(NEXT) | instid1(VALU_DEP_1)
	v_mul_f32_e32 v7, v6, v5
	v_fma_f32 v8, -v4, v7, v6
	s_delay_alu instid0(VALU_DEP_1) | instskip(NEXT) | instid1(VALU_DEP_1)
	v_fmac_f32_e32 v7, v8, v5
	v_fma_f32 v4, -v4, v7, v6
	s_delay_alu instid0(VALU_DEP_1) | instskip(NEXT) | instid1(VALU_DEP_1)
	v_div_fmas_f32 v4, v4, v5, v7
	v_div_fixup_f32 v2, v4, v2, v3
	global_store_b32 v[0:1], v2, off
.LBB2_6:
	s_endpgm
	.section	.rodata,"a",@progbits
	.p2align	6, 0x0
	.amdhsa_kernel _ZL33flash_attn_stream_k_fixup_uniformILi256ELi1ELi32EEvPfPK15HIP_vector_typeIfLj2EEiiiiiiS1_IjLj3EES5_S5_
		.amdhsa_group_segment_fixed_size 0
		.amdhsa_private_segment_fixed_size 0
		.amdhsa_kernarg_size 76
		.amdhsa_user_sgpr_count 2
		.amdhsa_user_sgpr_dispatch_ptr 0
		.amdhsa_user_sgpr_queue_ptr 0
		.amdhsa_user_sgpr_kernarg_segment_ptr 1
		.amdhsa_user_sgpr_dispatch_id 0
		.amdhsa_user_sgpr_kernarg_preload_length 0
		.amdhsa_user_sgpr_kernarg_preload_offset 0
		.amdhsa_user_sgpr_private_segment_size 0
		.amdhsa_wavefront_size32 1
		.amdhsa_uses_dynamic_stack 0
		.amdhsa_enable_private_segment 0
		.amdhsa_system_sgpr_workgroup_id_x 1
		.amdhsa_system_sgpr_workgroup_id_y 1
		.amdhsa_system_sgpr_workgroup_id_z 1
		.amdhsa_system_sgpr_workgroup_info 0
		.amdhsa_system_vgpr_workitem_id 0
		.amdhsa_next_free_vgpr 12
		.amdhsa_next_free_sgpr 21
		.amdhsa_named_barrier_count 0
		.amdhsa_reserve_vcc 1
		.amdhsa_float_round_mode_32 0
		.amdhsa_float_round_mode_16_64 0
		.amdhsa_float_denorm_mode_32 3
		.amdhsa_float_denorm_mode_16_64 3
		.amdhsa_fp16_overflow 0
		.amdhsa_memory_ordered 1
		.amdhsa_forward_progress 1
		.amdhsa_inst_pref_size 9
		.amdhsa_round_robin_scheduling 0
		.amdhsa_exception_fp_ieee_invalid_op 0
		.amdhsa_exception_fp_denorm_src 0
		.amdhsa_exception_fp_ieee_div_zero 0
		.amdhsa_exception_fp_ieee_overflow 0
		.amdhsa_exception_fp_ieee_underflow 0
		.amdhsa_exception_fp_ieee_inexact 0
		.amdhsa_exception_int_div_zero 0
	.end_amdhsa_kernel
	.section	.text._ZL33flash_attn_stream_k_fixup_uniformILi256ELi1ELi32EEvPfPK15HIP_vector_typeIfLj2EEiiiiiiS1_IjLj3EES5_S5_,"axG",@progbits,_ZL33flash_attn_stream_k_fixup_uniformILi256ELi1ELi32EEvPfPK15HIP_vector_typeIfLj2EEiiiiiiS1_IjLj3EES5_S5_,comdat
.Lfunc_end2:
	.size	_ZL33flash_attn_stream_k_fixup_uniformILi256ELi1ELi32EEvPfPK15HIP_vector_typeIfLj2EEiiiiiiS1_IjLj3EES5_S5_, .Lfunc_end2-_ZL33flash_attn_stream_k_fixup_uniformILi256ELi1ELi32EEvPfPK15HIP_vector_typeIfLj2EEiiiiiiS1_IjLj3EES5_S5_
                                        ; -- End function
	.set _ZL33flash_attn_stream_k_fixup_uniformILi256ELi1ELi32EEvPfPK15HIP_vector_typeIfLj2EEiiiiiiS1_IjLj3EES5_S5_.num_vgpr, 12
	.set _ZL33flash_attn_stream_k_fixup_uniformILi256ELi1ELi32EEvPfPK15HIP_vector_typeIfLj2EEiiiiiiS1_IjLj3EES5_S5_.num_agpr, 0
	.set _ZL33flash_attn_stream_k_fixup_uniformILi256ELi1ELi32EEvPfPK15HIP_vector_typeIfLj2EEiiiiiiS1_IjLj3EES5_S5_.numbered_sgpr, 21
	.set _ZL33flash_attn_stream_k_fixup_uniformILi256ELi1ELi32EEvPfPK15HIP_vector_typeIfLj2EEiiiiiiS1_IjLj3EES5_S5_.num_named_barrier, 0
	.set _ZL33flash_attn_stream_k_fixup_uniformILi256ELi1ELi32EEvPfPK15HIP_vector_typeIfLj2EEiiiiiiS1_IjLj3EES5_S5_.private_seg_size, 0
	.set _ZL33flash_attn_stream_k_fixup_uniformILi256ELi1ELi32EEvPfPK15HIP_vector_typeIfLj2EEiiiiiiS1_IjLj3EES5_S5_.uses_vcc, 1
	.set _ZL33flash_attn_stream_k_fixup_uniformILi256ELi1ELi32EEvPfPK15HIP_vector_typeIfLj2EEiiiiiiS1_IjLj3EES5_S5_.uses_flat_scratch, 0
	.set _ZL33flash_attn_stream_k_fixup_uniformILi256ELi1ELi32EEvPfPK15HIP_vector_typeIfLj2EEiiiiiiS1_IjLj3EES5_S5_.has_dyn_sized_stack, 0
	.set _ZL33flash_attn_stream_k_fixup_uniformILi256ELi1ELi32EEvPfPK15HIP_vector_typeIfLj2EEiiiiiiS1_IjLj3EES5_S5_.has_recursion, 0
	.set _ZL33flash_attn_stream_k_fixup_uniformILi256ELi1ELi32EEvPfPK15HIP_vector_typeIfLj2EEiiiiiiS1_IjLj3EES5_S5_.has_indirect_call, 0
	.section	.AMDGPU.csdata,"",@progbits
; Kernel info:
; codeLenInByte = 1072
; TotalNumSgprs: 23
; NumVgprs: 12
; ScratchSize: 0
; MemoryBound: 0
; FloatMode: 240
; IeeeMode: 1
; LDSByteSize: 0 bytes/workgroup (compile time only)
; SGPRBlocks: 0
; VGPRBlocks: 0
; NumSGPRsForWavesPerEU: 23
; NumVGPRsForWavesPerEU: 12
; NamedBarCnt: 0
; Occupancy: 16
; WaveLimiterHint : 0
; COMPUTE_PGM_RSRC2:SCRATCH_EN: 0
; COMPUTE_PGM_RSRC2:USER_SGPR: 2
; COMPUTE_PGM_RSRC2:TRAP_HANDLER: 0
; COMPUTE_PGM_RSRC2:TGID_X_EN: 1
; COMPUTE_PGM_RSRC2:TGID_Y_EN: 1
; COMPUTE_PGM_RSRC2:TGID_Z_EN: 1
; COMPUTE_PGM_RSRC2:TIDIG_COMP_CNT: 0
	.section	.text._ZL33flash_attn_stream_k_fixup_generalILi256ELi1ELi32EEvPfPK15HIP_vector_typeIfLj2EEiiiiS1_IjLj3EES5_S5_S5_,"axG",@progbits,_ZL33flash_attn_stream_k_fixup_generalILi256ELi1ELi32EEvPfPK15HIP_vector_typeIfLj2EEiiiiS1_IjLj3EES5_S5_S5_,comdat
	.globl	_ZL33flash_attn_stream_k_fixup_generalILi256ELi1ELi32EEvPfPK15HIP_vector_typeIfLj2EEiiiiS1_IjLj3EES5_S5_S5_ ; -- Begin function _ZL33flash_attn_stream_k_fixup_generalILi256ELi1ELi32EEvPfPK15HIP_vector_typeIfLj2EEiiiiS1_IjLj3EES5_S5_S5_
	.p2align	8
	.type	_ZL33flash_attn_stream_k_fixup_generalILi256ELi1ELi32EEvPfPK15HIP_vector_typeIfLj2EEiiiiS1_IjLj3EES5_S5_S5_,@function
_ZL33flash_attn_stream_k_fixup_generalILi256ELi1ELi32EEvPfPK15HIP_vector_typeIfLj2EEiiiiS1_IjLj3EES5_S5_S5_: ; @_ZL33flash_attn_stream_k_fixup_generalILi256ELi1ELi32EEvPfPK15HIP_vector_typeIfLj2EEiiiiS1_IjLj3EES5_S5_S5_
; %bb.0:
	s_clause 0x1
	s_load_b128 s[4:7], s[0:1], 0x10
	s_load_b32 s16, s[0:1], 0x50
	s_bfe_u32 s2, ttmp6, 0x4000c
	s_and_b32 s3, ttmp6, 15
	s_add_co_i32 s2, s2, 1
	s_getreg_b32 s15, hwreg(HW_REG_IB_STS2, 6, 4)
	s_mul_i32 s2, ttmp9, s2
	s_mov_b32 s17, 0
	s_add_co_i32 s3, s3, s2
	s_cmp_eq_u32 s15, 0
	s_cselect_b32 s2, ttmp9, s3
	s_delay_alu instid0(SALU_CYCLE_1) | instskip(SKIP_3) | instid1(SALU_CYCLE_1)
	s_ashr_i32 s3, s2, 31
	s_wait_kmcnt 0x0
	s_ashr_i32 s19, s7, 31
	s_mov_b32 s18, s7
	s_mul_u64 s[8:9], s[18:19], s[2:3]
	s_delay_alu instid0(SALU_CYCLE_1) | instskip(NEXT) | instid1(SALU_CYCLE_1)
	s_and_b64 s[10:11], s[8:9], 0xffffffff00000000
	s_cmp_lg_u64 s[10:11], 0
	s_cbranch_scc0 .LBB3_21
; %bb.1:
	s_add_nc_u64 s[10:11], s[16:17], 0
	s_mov_b32 s23, s17
	s_xor_b64 s[10:11], s[10:11], 0
	s_mov_b32 s27, s17
	s_cvt_f32_u32 s3, s10
	s_cvt_f32_u32 s7, s11
	s_sub_nc_u64 s[20:21], 0, s[10:11]
	s_delay_alu instid0(SALU_CYCLE_2) | instskip(NEXT) | instid1(SALU_CYCLE_3)
	s_fmamk_f32 s3, s7, 0x4f800000, s3
	v_s_rcp_f32 s3, s3
	s_delay_alu instid0(TRANS32_DEP_1) | instskip(NEXT) | instid1(SALU_CYCLE_3)
	s_mul_f32 s3, s3, 0x5f7ffffc
	s_mul_f32 s7, s3, 0x2f800000
	s_delay_alu instid0(SALU_CYCLE_3) | instskip(NEXT) | instid1(SALU_CYCLE_3)
	s_trunc_f32 s7, s7
	s_fmamk_f32 s3, s7, 0xcf800000, s3
	s_cvt_u32_f32 s13, s7
	s_delay_alu instid0(SALU_CYCLE_2) | instskip(NEXT) | instid1(SALU_CYCLE_3)
	s_cvt_u32_f32 s12, s3
	s_mul_u64 s[24:25], s[20:21], s[12:13]
	s_delay_alu instid0(SALU_CYCLE_1)
	s_mul_hi_u32 s29, s12, s25
	s_mul_i32 s28, s12, s25
	s_mul_hi_u32 s22, s12, s24
	s_mul_i32 s7, s13, s24
	s_add_nc_u64 s[22:23], s[22:23], s[28:29]
	s_mul_hi_u32 s3, s13, s24
	s_mul_hi_u32 s14, s13, s25
	s_add_co_u32 s7, s22, s7
	s_add_co_ci_u32 s26, s23, s3
	s_mul_i32 s24, s13, s25
	s_add_co_ci_u32 s25, s14, 0
	s_delay_alu instid0(SALU_CYCLE_1) | instskip(SKIP_3) | instid1(SALU_CYCLE_1)
	s_add_nc_u64 s[22:23], s[26:27], s[24:25]
	s_mov_b32 s25, s17
	s_add_co_u32 s12, s12, s22
	s_cselect_b32 s3, -1, 0
	s_cmp_lg_u32 s3, 0
	s_add_co_ci_u32 s13, s13, s23
	s_mov_b32 s23, s17
	s_mul_u64 s[20:21], s[20:21], s[12:13]
	s_delay_alu instid0(SALU_CYCLE_1)
	s_mul_hi_u32 s27, s12, s21
	s_mul_i32 s26, s12, s21
	s_mul_hi_u32 s22, s12, s20
	s_mul_i32 s7, s13, s20
	s_add_nc_u64 s[22:23], s[22:23], s[26:27]
	s_mul_hi_u32 s3, s13, s20
	s_mul_hi_u32 s14, s13, s21
	s_add_co_u32 s7, s22, s7
	s_add_co_ci_u32 s24, s23, s3
	s_mul_i32 s20, s13, s21
	s_add_co_ci_u32 s21, s14, 0
	s_mov_b32 s23, s17
	s_add_nc_u64 s[20:21], s[24:25], s[20:21]
	s_delay_alu instid0(SALU_CYCLE_1) | instskip(SKIP_1) | instid1(SALU_CYCLE_1)
	s_add_co_u32 s3, s12, s20
	s_cselect_b32 s7, -1, 0
	s_cmp_lg_u32 s7, 0
	s_add_co_ci_u32 s7, s13, s21
	s_ashr_i32 s12, s9, 31
	s_delay_alu instid0(SALU_CYCLE_1) | instskip(NEXT) | instid1(SALU_CYCLE_1)
	s_mov_b32 s13, s12
	s_add_nc_u64 s[20:21], s[8:9], s[12:13]
	s_delay_alu instid0(SALU_CYCLE_1) | instskip(NEXT) | instid1(SALU_CYCLE_1)
	s_xor_b64 s[20:21], s[20:21], s[12:13]
	s_mul_hi_u32 s27, s20, s7
	s_mul_i32 s26, s20, s7
	s_mul_hi_u32 s22, s20, s3
	s_mul_hi_u32 s14, s21, s3
	s_mul_i32 s3, s21, s3
	s_add_nc_u64 s[22:23], s[22:23], s[26:27]
	s_mul_hi_u32 s9, s21, s7
	s_add_co_u32 s3, s22, s3
	s_add_co_ci_u32 s24, s23, s14
	s_mul_i32 s26, s21, s7
	s_add_co_ci_u32 s27, s9, 0
	s_delay_alu instid0(SALU_CYCLE_1) | instskip(NEXT) | instid1(SALU_CYCLE_1)
	s_add_nc_u64 s[22:23], s[24:25], s[26:27]
	s_and_b64 s[24:25], s[22:23], 0xffffffff00000000
	s_delay_alu instid0(SALU_CYCLE_1) | instskip(NEXT) | instid1(SALU_CYCLE_1)
	s_or_b32 s24, s24, s22
	s_mul_u64 s[22:23], s[10:11], s[24:25]
	s_add_nc_u64 s[26:27], s[24:25], 1
	s_sub_co_u32 s3, s20, s22
	s_cselect_b32 s7, -1, 0
	s_sub_co_i32 s9, s21, s23
	s_cmp_lg_u32 s7, 0
	s_add_nc_u64 s[28:29], s[24:25], 2
	s_sub_co_ci_u32 s9, s9, s11
	s_sub_co_u32 s14, s3, s10
	s_cselect_b32 s20, -1, 0
	s_delay_alu instid0(SALU_CYCLE_1) | instskip(SKIP_1) | instid1(SALU_CYCLE_1)
	s_cmp_lg_u32 s20, 0
	s_sub_co_ci_u32 s9, s9, 0
	s_cmp_ge_u32 s9, s11
	s_cselect_b32 s20, -1, 0
	s_cmp_ge_u32 s14, s10
	s_cselect_b32 s14, -1, 0
	s_cmp_eq_u32 s9, s11
	s_cselect_b32 s9, s14, s20
	s_delay_alu instid0(SALU_CYCLE_1) | instskip(SKIP_4) | instid1(SALU_CYCLE_1)
	s_cmp_lg_u32 s9, 0
	s_cselect_b32 s9, s28, s26
	s_cselect_b32 s14, s29, s27
	s_cmp_lg_u32 s7, 0
	s_sub_co_ci_u32 s7, s21, s23
	s_cmp_ge_u32 s7, s11
	s_cselect_b32 s20, -1, 0
	s_cmp_ge_u32 s3, s10
	s_cselect_b32 s3, -1, 0
	s_cmp_eq_u32 s7, s11
	s_cselect_b32 s3, s3, s20
	s_delay_alu instid0(SALU_CYCLE_1) | instskip(SKIP_4) | instid1(SALU_CYCLE_1)
	s_cmp_lg_u32 s3, 0
	s_mov_b32 s3, s17
	s_cselect_b32 s11, s14, s25
	s_cselect_b32 s10, s9, s24
	s_xor_b64 s[12:13], s[12:13], 0
	s_xor_b64 s[10:11], s[10:11], s[12:13]
	s_delay_alu instid0(SALU_CYCLE_1)
	s_sub_nc_u64 s[20:21], s[10:11], s[12:13]
	s_and_not1_b32 vcc_lo, exec_lo, s3
	s_cbranch_vccnz .LBB3_3
.LBB3_2:
	v_cvt_f32_u32_e32 v1, s16
	s_sub_co_i32 s7, 0, s16
	s_mov_b32 s21, 0
	s_delay_alu instid0(VALU_DEP_1) | instskip(SKIP_1) | instid1(TRANS32_DEP_1)
	v_rcp_iflag_f32_e32 v1, v1
	v_nop
	v_mul_f32_e32 v1, 0x4f7ffffe, v1
	s_delay_alu instid0(VALU_DEP_1) | instskip(NEXT) | instid1(VALU_DEP_1)
	v_cvt_u32_f32_e32 v1, v1
	v_readfirstlane_b32 s3, v1
	s_mul_i32 s7, s7, s3
	s_delay_alu instid0(SALU_CYCLE_1) | instskip(NEXT) | instid1(SALU_CYCLE_1)
	s_mul_hi_u32 s7, s3, s7
	s_add_co_i32 s3, s3, s7
	s_delay_alu instid0(SALU_CYCLE_1) | instskip(NEXT) | instid1(SALU_CYCLE_1)
	s_mul_hi_u32 s3, s8, s3
	s_mul_i32 s7, s3, s16
	s_delay_alu instid0(SALU_CYCLE_1)
	s_sub_co_i32 s7, s8, s7
	s_add_co_i32 s8, s3, 1
	s_sub_co_i32 s9, s7, s16
	s_cmp_ge_u32 s7, s16
	s_cselect_b32 s3, s8, s3
	s_cselect_b32 s7, s9, s7
	s_add_co_i32 s8, s3, 1
	s_cmp_ge_u32 s7, s16
	s_cselect_b32 s20, s8, s3
.LBB3_3:
	s_add_co_i32 s8, s2, 1
	s_delay_alu instid0(SALU_CYCLE_1) | instskip(NEXT) | instid1(SALU_CYCLE_1)
	s_ashr_i32 s9, s8, 31
	s_mul_u64 s[8:9], s[18:19], s[8:9]
	s_delay_alu instid0(SALU_CYCLE_1) | instskip(NEXT) | instid1(SALU_CYCLE_1)
	s_and_b64 s[10:11], s[8:9], 0xffffffff00000000
	s_cmp_lg_u64 s[10:11], 0
	s_cbranch_scc0 .LBB3_22
; %bb.4:
	s_add_nc_u64 s[10:11], s[16:17], 0
	s_delay_alu instid0(SALU_CYCLE_1) | instskip(SKIP_4) | instid1(SALU_CYCLE_2)
	s_xor_b64 s[12:13], s[10:11], 0
	s_mov_b32 s11, 0
	s_cvt_f32_u32 s3, s12
	s_cvt_f32_u32 s7, s13
	s_sub_nc_u64 s[24:25], 0, s[12:13]
	s_fmamk_f32 s3, s7, 0x4f800000, s3
	s_delay_alu instid0(SALU_CYCLE_3) | instskip(NEXT) | instid1(TRANS32_DEP_1)
	v_s_rcp_f32 s3, s3
	s_mul_f32 s3, s3, 0x5f7ffffc
	s_delay_alu instid0(SALU_CYCLE_3) | instskip(NEXT) | instid1(SALU_CYCLE_3)
	s_mul_f32 s7, s3, 0x2f800000
	s_trunc_f32 s7, s7
	s_delay_alu instid0(SALU_CYCLE_3) | instskip(SKIP_1) | instid1(SALU_CYCLE_2)
	s_fmamk_f32 s3, s7, 0xcf800000, s3
	s_cvt_u32_f32 s23, s7
	s_cvt_u32_f32 s22, s3
	s_delay_alu instid0(SALU_CYCLE_3) | instskip(NEXT) | instid1(SALU_CYCLE_1)
	s_mul_u64 s[26:27], s[24:25], s[22:23]
	s_mul_hi_u32 s29, s22, s27
	s_mul_i32 s28, s22, s27
	s_mul_hi_u32 s10, s22, s26
	s_mul_i32 s7, s23, s26
	s_add_nc_u64 s[28:29], s[10:11], s[28:29]
	s_mul_hi_u32 s3, s23, s26
	s_mul_hi_u32 s14, s23, s27
	s_add_co_u32 s7, s28, s7
	s_add_co_ci_u32 s10, s29, s3
	s_mul_i32 s26, s23, s27
	s_add_co_ci_u32 s27, s14, 0
	s_delay_alu instid0(SALU_CYCLE_1) | instskip(NEXT) | instid1(SALU_CYCLE_1)
	s_add_nc_u64 s[26:27], s[10:11], s[26:27]
	s_add_co_u32 s22, s22, s26
	s_cselect_b32 s3, -1, 0
	s_delay_alu instid0(SALU_CYCLE_1) | instskip(SKIP_1) | instid1(SALU_CYCLE_1)
	s_cmp_lg_u32 s3, 0
	s_add_co_ci_u32 s23, s23, s27
	s_mul_u64 s[24:25], s[24:25], s[22:23]
	s_delay_alu instid0(SALU_CYCLE_1)
	s_mul_hi_u32 s27, s22, s25
	s_mul_i32 s26, s22, s25
	s_mul_hi_u32 s10, s22, s24
	s_mul_i32 s7, s23, s24
	s_add_nc_u64 s[26:27], s[10:11], s[26:27]
	s_mul_hi_u32 s3, s23, s24
	s_mul_hi_u32 s14, s23, s25
	s_add_co_u32 s7, s26, s7
	s_add_co_ci_u32 s10, s27, s3
	s_mul_i32 s24, s23, s25
	s_add_co_ci_u32 s25, s14, 0
	s_delay_alu instid0(SALU_CYCLE_1) | instskip(NEXT) | instid1(SALU_CYCLE_1)
	s_add_nc_u64 s[24:25], s[10:11], s[24:25]
	s_add_co_u32 s3, s22, s24
	s_cselect_b32 s7, -1, 0
	s_delay_alu instid0(SALU_CYCLE_1) | instskip(SKIP_2) | instid1(SALU_CYCLE_1)
	s_cmp_lg_u32 s7, 0
	s_add_co_ci_u32 s7, s23, s25
	s_ashr_i32 s22, s9, 31
	s_mov_b32 s23, s22
	s_delay_alu instid0(SALU_CYCLE_1) | instskip(NEXT) | instid1(SALU_CYCLE_1)
	s_add_nc_u64 s[24:25], s[8:9], s[22:23]
	s_xor_b64 s[24:25], s[24:25], s[22:23]
	s_delay_alu instid0(SALU_CYCLE_1)
	s_mul_hi_u32 s27, s24, s7
	s_mul_i32 s26, s24, s7
	s_mul_hi_u32 s10, s24, s3
	s_mul_hi_u32 s14, s25, s3
	s_mul_i32 s3, s25, s3
	s_add_nc_u64 s[26:27], s[10:11], s[26:27]
	s_mul_hi_u32 s9, s25, s7
	s_add_co_u32 s3, s26, s3
	s_add_co_ci_u32 s10, s27, s14
	s_mul_i32 s28, s25, s7
	s_add_co_ci_u32 s29, s9, 0
	s_delay_alu instid0(SALU_CYCLE_1) | instskip(NEXT) | instid1(SALU_CYCLE_1)
	s_add_nc_u64 s[26:27], s[10:11], s[28:29]
	s_and_b64 s[28:29], s[26:27], 0xffffffff00000000
	s_delay_alu instid0(SALU_CYCLE_1) | instskip(NEXT) | instid1(SALU_CYCLE_1)
	s_or_b32 s28, s28, s26
	s_mul_u64 s[26:27], s[12:13], s[28:29]
	s_add_nc_u64 s[30:31], s[28:29], 1
	s_sub_co_u32 s3, s24, s26
	s_cselect_b32 s7, -1, 0
	s_sub_co_i32 s9, s25, s27
	s_cmp_lg_u32 s7, 0
	s_add_nc_u64 s[34:35], s[28:29], 2
	s_sub_co_ci_u32 s9, s9, s13
	s_sub_co_u32 s10, s3, s12
	s_cselect_b32 s14, -1, 0
	s_delay_alu instid0(SALU_CYCLE_1) | instskip(SKIP_1) | instid1(SALU_CYCLE_1)
	s_cmp_lg_u32 s14, 0
	s_sub_co_ci_u32 s9, s9, 0
	s_cmp_ge_u32 s9, s13
	s_cselect_b32 s14, -1, 0
	s_cmp_ge_u32 s10, s12
	s_cselect_b32 s10, -1, 0
	s_cmp_eq_u32 s9, s13
	s_cselect_b32 s9, s10, s14
	s_delay_alu instid0(SALU_CYCLE_1) | instskip(SKIP_4) | instid1(SALU_CYCLE_1)
	s_cmp_lg_u32 s9, 0
	s_cselect_b32 s9, s34, s30
	s_cselect_b32 s10, s35, s31
	s_cmp_lg_u32 s7, 0
	s_sub_co_ci_u32 s7, s25, s27
	s_cmp_ge_u32 s7, s13
	s_cselect_b32 s14, -1, 0
	s_cmp_ge_u32 s3, s12
	s_cselect_b32 s3, -1, 0
	s_cmp_eq_u32 s7, s13
	s_cselect_b32 s3, s3, s14
	s_delay_alu instid0(SALU_CYCLE_1) | instskip(SKIP_3) | instid1(SALU_CYCLE_1)
	s_cmp_lg_u32 s3, 0
	s_cselect_b32 s13, s10, s29
	s_cselect_b32 s12, s9, s28
	s_xor_b64 s[22:23], s[22:23], 0
	s_xor_b64 s[12:13], s[12:13], s[22:23]
	s_delay_alu instid0(SALU_CYCLE_1)
	s_sub_nc_u64 s[24:25], s[12:13], s[22:23]
	s_load_b96 s[12:14], s[0:1], 0x44
	s_cbranch_execnz .LBB3_6
.LBB3_5:
	v_cvt_f32_u32_e32 v1, s16
	s_sub_co_i32 s7, 0, s16
	s_delay_alu instid0(VALU_DEP_1) | instskip(SKIP_1) | instid1(TRANS32_DEP_1)
	v_rcp_iflag_f32_e32 v1, v1
	v_nop
	v_mul_f32_e32 v1, 0x4f7ffffe, v1
	s_delay_alu instid0(VALU_DEP_1) | instskip(NEXT) | instid1(VALU_DEP_1)
	v_cvt_u32_f32_e32 v1, v1
	v_readfirstlane_b32 s3, v1
	s_mul_i32 s7, s7, s3
	s_delay_alu instid0(SALU_CYCLE_1) | instskip(NEXT) | instid1(SALU_CYCLE_1)
	s_mul_hi_u32 s7, s3, s7
	s_add_co_i32 s3, s3, s7
	s_delay_alu instid0(SALU_CYCLE_1) | instskip(NEXT) | instid1(SALU_CYCLE_1)
	s_mul_hi_u32 s3, s8, s3
	s_mul_i32 s7, s3, s16
	s_delay_alu instid0(SALU_CYCLE_1)
	s_sub_co_i32 s7, s8, s7
	s_add_co_i32 s8, s3, 1
	s_sub_co_i32 s9, s7, s16
	s_cmp_ge_u32 s7, s16
	s_cselect_b32 s3, s8, s3
	s_cselect_b32 s7, s9, s7
	s_add_co_i32 s8, s3, 1
	s_cmp_ge_u32 s7, s16
	s_cselect_b32 s24, s8, s3
.LBB3_6:
	s_delay_alu instid0(SALU_CYCLE_1)
	s_cmp_eq_u32 s20, s24
	s_mov_b64 s[8:9], 0xffffffff
	s_cselect_b32 s3, -1, 0
	s_and_b64 s[8:9], s[20:21], s[8:9]
	s_mov_b32 s23, 0
	s_wait_kmcnt 0x0
	s_mov_b32 s22, s12
	s_mov_b32 s25, s23
	s_mul_u64 s[10:11], s[8:9], s[22:23]
	s_delay_alu instid0(SALU_CYCLE_1) | instskip(SKIP_2) | instid1(SALU_CYCLE_1)
	s_add_co_i32 s7, s11, s20
	s_mul_u64 s[10:11], s[24:25], s[22:23]
	s_lshr_b32 s12, s7, s13
	s_mul_i32 s7, s12, s14
	s_delay_alu instid0(SALU_CYCLE_1) | instskip(SKIP_2) | instid1(SALU_CYCLE_1)
	s_cmp_eq_u32 s7, s20
	s_cselect_b32 s7, -1, 0
	s_add_co_i32 s10, s11, s24
	s_lshr_b32 s10, s10, s13
	s_delay_alu instid0(SALU_CYCLE_1)
	s_cmp_eq_u32 s12, s10
	s_mul_i32 s10, s10, s14
	s_cselect_b32 s11, -1, 0
	s_cmp_lg_u32 s10, s24
	s_cselect_b32 s10, -1, 0
	s_or_b32 s3, s3, s7
	s_and_b32 s10, s11, s10
	s_delay_alu instid0(SALU_CYCLE_1) | instskip(NEXT) | instid1(SALU_CYCLE_1)
	s_or_b32 s3, s3, s10
	s_and_b32 vcc_lo, exec_lo, s3
	s_cbranch_vccnz .LBB3_24
; %bb.7:
	s_load_b256 s[24:31], s[0:1], 0x20
	s_bfe_u32 s7, ttmp6, 0x40014
	s_bfe_u32 s33, ttmp6, 0x40010
	s_lshr_b32 s3, ttmp7, 16
	s_add_co_i32 s7, s7, 1
	s_and_b32 s21, ttmp7, 0xffff
	s_add_co_i32 s33, s33, 1
	s_bfe_u32 s10, ttmp6, 0x40008
	s_mul_i32 s7, s3, s7
	s_bfe_u32 s34, ttmp6, 0x40004
	s_mul_i32 s33, s21, s33
	s_mov_b32 s11, s23
	s_add_co_i32 s7, s10, s7
	s_add_co_i32 s34, s34, s33
	s_cmp_eq_u32 s15, 0
	s_cselect_b32 s15, s21, s34
	s_cselect_b32 s21, s3, s7
	s_wait_kmcnt 0x0
	s_mov_b32 s10, s24
	s_delay_alu instid0(SALU_CYCLE_1) | instskip(SKIP_2) | instid1(SALU_CYCLE_1)
	s_mul_u64 s[8:9], s[8:9], s[10:11]
	s_load_b32 s8, s[0:1], 0x40
	s_add_co_i32 s3, s9, s20
	s_lshr_b32 s3, s3, s25
	s_delay_alu instid0(SALU_CYCLE_1) | instskip(NEXT) | instid1(SALU_CYCLE_1)
	s_mul_i32 s7, s3, s26
	s_sub_co_i32 s9, s20, s7
	s_delay_alu instid0(SALU_CYCLE_1) | instskip(NEXT) | instid1(SALU_CYCLE_1)
	s_mul_hi_u32 s7, s9, s27
	s_add_co_i32 s7, s9, s7
	s_delay_alu instid0(SALU_CYCLE_1) | instskip(NEXT) | instid1(SALU_CYCLE_1)
	s_lshr_b32 s7, s7, s28
	s_mul_i32 s10, s7, s29
	s_delay_alu instid0(SALU_CYCLE_1) | instskip(NEXT) | instid1(SALU_CYCLE_1)
	s_sub_co_i32 s10, s9, s10
	s_mul_hi_u32 s9, s10, s30
	s_delay_alu instid0(SALU_CYCLE_1) | instskip(NEXT) | instid1(SALU_CYCLE_1)
	s_add_co_i32 s9, s10, s9
	s_lshr_b32 s25, s9, s31
	s_mov_b32 s9, s23
	s_wait_kmcnt 0x0
	s_mul_i32 s8, s25, s8
	s_lshl_b32 s25, s25, 5
	s_sub_co_i32 s8, s10, s8
	s_delay_alu instid0(SALU_CYCLE_1) | instskip(NEXT) | instid1(SALU_CYCLE_1)
	s_mul_u64 s[10:11], s[8:9], s[22:23]
	s_add_co_i32 s8, s8, s11
	s_delay_alu instid0(SALU_CYCLE_1) | instskip(NEXT) | instid1(SALU_CYCLE_1)
	s_lshr_b32 s24, s8, s13
	s_add_co_i32 s24, s24, s15
	s_delay_alu instid0(SALU_CYCLE_1) | instskip(SKIP_2) | instid1(SALU_CYCLE_1)
	s_cmp_lt_i32 s24, s4
	s_cselect_b32 s8, -1, 0
	s_add_co_i32 s25, s25, s21
	s_cmp_lt_i32 s25, s6
	s_cselect_b32 s9, -1, 0
	s_delay_alu instid0(SALU_CYCLE_1) | instskip(NEXT) | instid1(SALU_CYCLE_1)
	s_and_b32 s8, s8, s9
	s_and_not1_b32 vcc_lo, exec_lo, s8
	s_cbranch_vccnz .LBB3_24
; %bb.8:
	s_load_b128 s[8:11], s[0:1], 0x0
	s_mul_i32 s3, s3, s4
	s_mul_i32 s7, s7, s6
	s_wait_xcnt 0x0
	s_add_co_i32 s0, s24, s3
	s_add_co_i32 s1, s25, s7
	s_mul_i32 s0, s0, s5
	s_add_co_i32 s3, s15, s2
	s_add_co_i32 s1, s1, s0
	v_cvt_f32_u32_e32 v4, s16
	v_lshl_or_b32 v2, s1, 8, v0
	s_add_nc_u64 s[0:1], s[16:17], 0
	s_lshl_b32 s24, s16, 7
	s_xor_b64 s[6:7], s[0:1], 0
	s_lshl_b32 s0, s3, 5
	s_cvt_f32_u32 s3, s6
	s_cvt_f32_u32 s4, s7
	s_add_co_i32 s0, s0, s21
	v_rcp_iflag_f32_e32 v4, v4
	s_ashr_i32 s1, s0, 31
	s_fmamk_f32 s3, s4, 0x4f800000, s3
	s_wait_kmcnt 0x0
	global_load_b32 v1, v2, s[8:9] scale_offset
	s_lshl_b64 s[0:1], s[0:1], 3
	s_mov_b32 s25, 0
	v_s_rcp_f32 s3, s3
	s_add_nc_u64 s[0:1], s[10:11], s[0:1]
	v_dual_mul_f32 v4, 0x4f7ffffe, v4 :: v_dual_ashrrev_i32 v3, 31, v2
	s_load_b64 s[28:29], s[0:1], 0x0
	s_wait_xcnt 0x0
	s_lshl_b64 s[0:1], s[24:25], 2
	v_lshl_or_b32 v6, s21, 8, v0
	s_add_nc_u64 s[26:27], s[10:11], s[0:1]
	s_mul_f32 s3, s3, 0x5f7ffffc
	v_lshl_add_u64 v[2:3], v[2:3], 2, s[8:9]
	v_cvt_u32_f32_e32 v7, v4
	s_mov_b64 s[8:9], 0xffffffff
	s_mul_f32 s4, s3, 0x2f800000
	s_add_co_i32 s36, s2, -1
	s_sub_nc_u64 s[34:35], 0, s[6:7]
	s_delay_alu instid0(SALU_CYCLE_1) | instskip(NEXT) | instid1(SALU_CYCLE_3)
	s_trunc_f32 s4, s4
	s_fmamk_f32 s0, s4, 0xcf800000, s3
	s_cvt_u32_f32 s31, s4
	s_wait_kmcnt 0x0
	v_mov_b32_e32 v0, s29
	s_cvt_u32_f32 s30, s0
.LBB3_9:                                ; =>This Inner Loop Header: Depth=1
	s_ashr_i32 s37, s36, 31
                                        ; implicit-def: $sgpr40_sgpr41
	s_delay_alu instid0(SALU_CYCLE_1) | instskip(NEXT) | instid1(SALU_CYCLE_1)
	s_mul_u64 s[0:1], s[36:37], s[18:19]
	s_and_b64 s[2:3], s[0:1], 0xffffffff00000000
	s_delay_alu instid0(SALU_CYCLE_1)
	s_cmp_lg_u64 s[2:3], 0
	s_mov_b32 s2, -1
	s_cbranch_scc0 .LBB3_11
; %bb.10:                               ;   in Loop: Header=BB3_9 Depth=1
	s_mul_u64 s[2:3], s[34:35], s[30:31]
	s_delay_alu instid0(SALU_CYCLE_1)
	s_mul_hi_u32 s5, s30, s3
	s_mul_i32 s4, s30, s3
	s_mul_hi_u32 s24, s30, s2
	s_mul_hi_u32 s17, s31, s2
	s_add_nc_u64 s[4:5], s[24:25], s[4:5]
	s_mul_i32 s2, s31, s2
	s_mul_hi_u32 s29, s31, s3
	s_add_co_u32 s2, s4, s2
	s_add_co_ci_u32 s24, s5, s17
	s_add_co_ci_u32 s5, s29, 0
	s_mul_i32 s4, s31, s3
	s_delay_alu instid0(SALU_CYCLE_1) | instskip(NEXT) | instid1(SALU_CYCLE_1)
	s_add_nc_u64 s[2:3], s[24:25], s[4:5]
	s_add_co_u32 s2, s30, s2
	s_cselect_b32 s4, -1, 0
	s_delay_alu instid0(SALU_CYCLE_1) | instskip(SKIP_1) | instid1(SALU_CYCLE_1)
	s_cmp_lg_u32 s4, 0
	s_add_co_ci_u32 s3, s31, s3
	s_mul_u64 s[4:5], s[34:35], s[2:3]
	s_delay_alu instid0(SALU_CYCLE_1)
	s_mul_hi_u32 s39, s2, s5
	s_mul_i32 s38, s2, s5
	s_mul_hi_u32 s24, s2, s4
	s_mul_hi_u32 s17, s3, s4
	s_mul_i32 s4, s3, s4
	s_add_nc_u64 s[38:39], s[24:25], s[38:39]
	s_mul_hi_u32 s29, s3, s5
	s_add_co_u32 s4, s38, s4
	s_add_co_ci_u32 s24, s39, s17
	s_mul_i32 s4, s3, s5
	s_add_co_ci_u32 s5, s29, 0
	s_delay_alu instid0(SALU_CYCLE_1) | instskip(NEXT) | instid1(SALU_CYCLE_1)
	s_add_nc_u64 s[4:5], s[24:25], s[4:5]
	s_add_co_u32 s17, s2, s4
	s_cselect_b32 s2, -1, 0
	s_delay_alu instid0(SALU_CYCLE_1) | instskip(SKIP_2) | instid1(SALU_CYCLE_1)
	s_cmp_lg_u32 s2, 0
	s_add_co_ci_u32 s29, s3, s5
	s_ashr_i32 s2, s1, 31
	s_mov_b32 s3, s2
	s_delay_alu instid0(SALU_CYCLE_1) | instskip(NEXT) | instid1(SALU_CYCLE_1)
	s_add_nc_u64 s[4:5], s[0:1], s[2:3]
	s_xor_b64 s[4:5], s[4:5], s[2:3]
	s_delay_alu instid0(SALU_CYCLE_1)
	s_mul_hi_u32 s39, s4, s29
	s_mul_i32 s38, s4, s29
	s_mul_hi_u32 s24, s4, s17
	s_mul_hi_u32 s33, s5, s17
	s_mul_i32 s17, s5, s17
	s_add_nc_u64 s[38:39], s[24:25], s[38:39]
	s_mul_hi_u32 s1, s5, s29
	s_add_co_u32 s17, s38, s17
	s_add_co_ci_u32 s24, s39, s33
	s_mul_i32 s40, s5, s29
	s_add_co_ci_u32 s41, s1, 0
	s_delay_alu instid0(SALU_CYCLE_1) | instskip(NEXT) | instid1(SALU_CYCLE_1)
	s_add_nc_u64 s[38:39], s[24:25], s[40:41]
	s_and_b64 s[40:41], s[38:39], 0xffffffff00000000
	s_delay_alu instid0(SALU_CYCLE_1) | instskip(NEXT) | instid1(SALU_CYCLE_1)
	s_or_b32 s40, s40, s38
	s_mul_u64 s[38:39], s[6:7], s[40:41]
	s_add_nc_u64 s[42:43], s[40:41], 1
	s_sub_co_u32 s1, s4, s38
	s_cselect_b32 s4, -1, 0
	s_sub_co_i32 s17, s5, s39
	s_cmp_lg_u32 s4, 0
	s_add_nc_u64 s[44:45], s[40:41], 2
	s_sub_co_ci_u32 s17, s17, s7
	s_sub_co_u32 s24, s1, s6
	s_cselect_b32 s29, -1, 0
	s_delay_alu instid0(SALU_CYCLE_1) | instskip(SKIP_1) | instid1(SALU_CYCLE_1)
	s_cmp_lg_u32 s29, 0
	s_sub_co_ci_u32 s17, s17, 0
	s_cmp_ge_u32 s17, s7
	s_cselect_b32 s29, -1, 0
	s_cmp_ge_u32 s24, s6
	s_cselect_b32 s24, -1, 0
	s_cmp_eq_u32 s17, s7
	s_cselect_b32 s17, s24, s29
	s_delay_alu instid0(SALU_CYCLE_1) | instskip(SKIP_4) | instid1(SALU_CYCLE_1)
	s_cmp_lg_u32 s17, 0
	s_cselect_b32 s17, s44, s42
	s_cselect_b32 s24, s45, s43
	s_cmp_lg_u32 s4, 0
	s_sub_co_ci_u32 s4, s5, s39
	s_cmp_ge_u32 s4, s7
	s_cselect_b32 s5, -1, 0
	s_cmp_ge_u32 s1, s6
	s_cselect_b32 s1, -1, 0
	s_cmp_eq_u32 s4, s7
	s_cselect_b32 s1, s1, s5
	s_delay_alu instid0(SALU_CYCLE_1) | instskip(SKIP_3) | instid1(SALU_CYCLE_1)
	s_cmp_lg_u32 s1, 0
	s_cselect_b32 s5, s24, s41
	s_cselect_b32 s4, s17, s40
	s_xor_b64 s[2:3], s[2:3], 0
	s_xor_b64 s[4:5], s[4:5], s[2:3]
	s_delay_alu instid0(SALU_CYCLE_1)
	s_sub_nc_u64 s[40:41], s[4:5], s[2:3]
	s_mov_b32 s2, 0
.LBB3_11:                               ;   in Loop: Header=BB3_9 Depth=1
	s_delay_alu instid0(SALU_CYCLE_1)
	s_and_not1_b32 vcc_lo, exec_lo, s2
	s_cbranch_vccnz .LBB3_13
; %bb.12:                               ;   in Loop: Header=BB3_9 Depth=1
	v_readfirstlane_b32 s1, v7
	s_sub_co_i32 s2, 0, s16
	s_delay_alu instid0(SALU_CYCLE_1) | instskip(NEXT) | instid1(SALU_CYCLE_1)
	s_mul_i32 s2, s2, s1
	s_mul_hi_u32 s2, s1, s2
	s_delay_alu instid0(SALU_CYCLE_1) | instskip(NEXT) | instid1(SALU_CYCLE_1)
	s_add_co_i32 s1, s1, s2
	s_mul_hi_u32 s1, s0, s1
	s_delay_alu instid0(SALU_CYCLE_1) | instskip(NEXT) | instid1(SALU_CYCLE_1)
	s_mul_i32 s2, s1, s16
	s_sub_co_i32 s0, s0, s2
	s_add_co_i32 s2, s1, 1
	s_sub_co_i32 s3, s0, s16
	s_cmp_ge_u32 s0, s16
	s_cselect_b32 s1, s2, s1
	s_cselect_b32 s0, s3, s0
	s_add_co_i32 s2, s1, 1
	s_cmp_ge_u32 s0, s16
	s_cselect_b32 s24, s2, s1
	s_delay_alu instid0(SALU_CYCLE_1)
	s_mov_b64 s[40:41], s[24:25]
.LBB3_13:                               ;   in Loop: Header=BB3_9 Depth=1
	s_delay_alu instid0(SALU_CYCLE_1)
	s_cmp_lg_u32 s20, s40
	s_mov_b32 s0, -1
                                        ; implicit-def: $vgpr4_vgpr5
                                        ; implicit-def: $sgpr29
                                        ; implicit-def: $sgpr17
                                        ; implicit-def: $sgpr24
                                        ; implicit-def: $sgpr33
	s_cbranch_scc0 .LBB3_18
; %bb.14:                               ;   in Loop: Header=BB3_9 Depth=1
	s_add_co_i32 s42, s36, s15
	v_max_num_f32_e64 v4, s28, s28
	s_add_co_i32 s0, s42, s16
	s_mov_b32 s33, s20
	s_lshl_b32 s0, s0, 5
	s_delay_alu instid0(SALU_CYCLE_1)
	s_add_co_i32 s0, s0, s21
	s_load_b64 s[38:39], s[10:11], s0 offset:0x0 scale_offset
	s_wait_xcnt 0x0
	v_readfirstlane_b32 s0, v4
	s_wait_kmcnt 0x0
	v_max_num_f32_e64 v5, s38, s38
	s_delay_alu instid0(VALU_DEP_1) | instskip(SKIP_1) | instid1(SALU_CYCLE_3)
	v_readfirstlane_b32 s1, v5
	s_max_num_f32 s17, s0, s1
	s_sub_f32 s37, s28, s17
	s_sub_f32 s38, s38, s17
	s_delay_alu instid0(SALU_CYCLE_2)
	s_cmp_nlt_f32 s37, 0xc2ce8ed0
	s_cselect_b32 s1, -1, 0
	s_cmp_ngt_f32 s37, 0x42b17218
	s_cselect_b32 s2, -1, 0
	s_cmp_ge_f32 s37, 0xc1a00000
	s_cselect_b32 s0, -1, 0
	s_cmp_nlt_f32 s38, 0xc2ce8ed0
	s_cselect_b32 s3, -1, 0
	s_cmp_ngt_f32 s38, 0x42b17218
	s_cselect_b32 s4, -1, 0
	s_cmp_ge_f32 s38, 0xc1a00000
	s_cselect_b32 s5, -1, 0
	s_and_b64 s[44:45], s[40:41], s[8:9]
	s_delay_alu instid0(SALU_CYCLE_1) | instskip(NEXT) | instid1(SALU_CYCLE_1)
	s_mul_u64 s[44:45], s[44:45], s[22:23]
	s_add_co_i32 s24, s45, s40
	s_delay_alu instid0(SALU_CYCLE_1) | instskip(NEXT) | instid1(SALU_CYCLE_1)
	s_lshr_b32 s24, s24, s13
	s_mul_i32 s29, s24, s14
	s_delay_alu instid0(SALU_CYCLE_1) | instskip(SKIP_3) | instid1(SALU_CYCLE_1)
	s_cmp_eq_u32 s29, s40
	s_cselect_b32 s29, -1, 0
	s_cmp_lt_u32 s24, s12
	s_cselect_b32 s24, -1, 0
	s_or_b32 s24, s24, s29
	s_mov_b32 s29, -1
	s_and_b32 vcc_lo, exec_lo, s24
	s_mov_b32 s24, s36
	s_cbranch_vccnz .LBB3_16
; %bb.15:                               ;   in Loop: Header=BB3_9 Depth=1
	s_add_co_i32 s24, s36, -1
	s_mov_b32 s29, 0
	s_mov_b32 s33, s40
.LBB3_16:                               ;   in Loop: Header=BB3_9 Depth=1
	v_lshl_add_u32 v4, s42, 13, v6
	s_mul_f32 s41, s37, 0x3fb8aa3b
	s_mul_f32 s40, s38, 0x3fb8aa3b
	s_delay_alu instid0(SALU_CYCLE_2)
	s_xor_b32 s43, s41, 0x80000000
	global_load_b32 v5, v4, s[26:27] scale_offset
	s_fmamk_f32 s43, s37, 0x3fb8aa3b, s43
	s_rndne_f32 s45, s41
	s_xor_b32 s42, s40, 0x80000000
	s_rndne_f32 s44, s40
	s_fmamk_f32 s37, s37, 0x32a5705f, s43
	s_sub_f32 s41, s41, s45
	s_fmamk_f32 s42, s38, 0x3fb8aa3b, s42
	s_sub_f32 s40, s40, s44
	s_delay_alu instid0(SALU_CYCLE_1) | instskip(NEXT) | instid1(SALU_CYCLE_1)
	s_add_f32 s37, s41, s37
	s_fmamk_f32 s38, s38, 0x32a5705f, s42
	s_cvt_i32_f32 s41, s45
	s_delay_alu instid0(SALU_CYCLE_1) | instskip(NEXT) | instid1(SALU_CYCLE_1)
	v_s_exp_f32 s37, s37
	s_add_f32 s38, s40, s38
	s_cvt_i32_f32 s40, s44
	s_delay_alu instid0(SALU_CYCLE_2) | instskip(NEXT) | instid1(TRANS32_DEP_2)
	v_s_exp_f32 s38, s38
	v_ldexp_f32 v8, s37, s41
	s_wait_xcnt 0x0
	s_delay_alu instid0(TRANS32_DEP_1) | instskip(NEXT) | instid1(VALU_DEP_2)
	v_ldexp_f32 v4, s38, s40
	v_cndmask_b32_e64 v8, 0, v8, s1
	s_delay_alu instid0(VALU_DEP_1) | instskip(NEXT) | instid1(VALU_DEP_1)
	v_cndmask_b32_e64 v9, 0x7f800000, v8, s2
	v_dual_cndmask_b32 v4, 0, v4, s3 :: v_dual_cndmask_b32 v10, 0, v9, s0
	s_delay_alu instid0(VALU_DEP_1) | instskip(NEXT) | instid1(VALU_DEP_1)
	v_cndmask_b32_e64 v4, 0x7f800000, v4, s4
	v_dual_cndmask_b32 v8, 0, v4, s5 :: v_dual_mov_b32 v4, s39
	s_wait_loadcnt 0x0
	s_delay_alu instid0(VALU_DEP_1) | instskip(NEXT) | instid1(VALU_DEP_1)
	v_pk_mul_f32 v[4:5], v[4:5], v[8:9] op_sel_hi:[1,0]
	v_pk_fma_f32 v[4:5], v[0:1], v[10:11], v[4:5] op_sel_hi:[1,0,1]
	s_cbranch_execz .LBB3_19
.LBB3_17:                               ;   in Loop: Header=BB3_9 Depth=1
	s_and_not1_b32 vcc_lo, exec_lo, s29
	s_cbranch_vccnz .LBB3_20
	s_branch .LBB3_23
.LBB3_18:                               ;   in Loop: Header=BB3_9 Depth=1
	s_and_not1_b32 vcc_lo, exec_lo, s0
	s_cbranch_vccnz .LBB3_17
.LBB3_19:                               ;   in Loop: Header=BB3_9 Depth=1
	s_wait_loadcnt 0x0
	v_mov_b64_e32 v[4:5], v[0:1]
	s_add_co_i32 s24, s36, -1
	s_mov_b32 s33, s20
	s_mov_b32 s17, s28
	s_cbranch_execz .LBB3_23
.LBB3_20:                               ;   in Loop: Header=BB3_9 Depth=1
	s_wait_loadcnt 0x0
	s_delay_alu instid0(VALU_DEP_1)
	v_mov_b64_e32 v[0:1], v[4:5]
	s_mov_b32 s20, s33
	s_mov_b32 s36, s24
	;; [unrolled: 1-line block ×3, first 2 shown]
	s_branch .LBB3_9
.LBB3_21:
                                        ; implicit-def: $sgpr20_sgpr21
	s_branch .LBB3_2
.LBB3_22:
                                        ; implicit-def: $sgpr24_sgpr25
	s_load_b96 s[12:14], s[0:1], 0x44
	s_branch .LBB3_5
.LBB3_23:
	s_delay_alu instid0(VALU_DEP_1) | instskip(SKIP_1) | instid1(VALU_DEP_1)
	v_div_scale_f32 v0, null, v4, v4, v5
	s_wait_loadcnt 0x0
	v_rcp_f32_e32 v1, v0
	v_nop
	s_delay_alu instid0(TRANS32_DEP_1) | instskip(NEXT) | instid1(VALU_DEP_1)
	v_fma_f32 v6, -v0, v1, 1.0
	v_fmac_f32_e32 v1, v6, v1
	v_div_scale_f32 v6, vcc_lo, v5, v4, v5
	s_delay_alu instid0(VALU_DEP_1) | instskip(NEXT) | instid1(VALU_DEP_1)
	v_mul_f32_e32 v7, v6, v1
	v_fma_f32 v8, -v0, v7, v6
	s_delay_alu instid0(VALU_DEP_1) | instskip(NEXT) | instid1(VALU_DEP_1)
	v_fmac_f32_e32 v7, v8, v1
	v_fma_f32 v0, -v0, v7, v6
	s_delay_alu instid0(VALU_DEP_1) | instskip(NEXT) | instid1(VALU_DEP_1)
	v_div_fmas_f32 v0, v0, v1, v7
	v_div_fixup_f32 v0, v0, v4, v5
	global_store_b32 v[2:3], v0, off
.LBB3_24:
	s_endpgm
	.section	.rodata,"a",@progbits
	.p2align	6, 0x0
	.amdhsa_kernel _ZL33flash_attn_stream_k_fixup_generalILi256ELi1ELi32EEvPfPK15HIP_vector_typeIfLj2EEiiiiS1_IjLj3EES5_S5_S5_
		.amdhsa_group_segment_fixed_size 0
		.amdhsa_private_segment_fixed_size 0
		.amdhsa_kernarg_size 336
		.amdhsa_user_sgpr_count 2
		.amdhsa_user_sgpr_dispatch_ptr 0
		.amdhsa_user_sgpr_queue_ptr 0
		.amdhsa_user_sgpr_kernarg_segment_ptr 1
		.amdhsa_user_sgpr_dispatch_id 0
		.amdhsa_user_sgpr_kernarg_preload_length 0
		.amdhsa_user_sgpr_kernarg_preload_offset 0
		.amdhsa_user_sgpr_private_segment_size 0
		.amdhsa_wavefront_size32 1
		.amdhsa_uses_dynamic_stack 0
		.amdhsa_enable_private_segment 0
		.amdhsa_system_sgpr_workgroup_id_x 1
		.amdhsa_system_sgpr_workgroup_id_y 1
		.amdhsa_system_sgpr_workgroup_id_z 1
		.amdhsa_system_sgpr_workgroup_info 0
		.amdhsa_system_vgpr_workitem_id 0
		.amdhsa_next_free_vgpr 12
		.amdhsa_next_free_sgpr 46
		.amdhsa_named_barrier_count 0
		.amdhsa_reserve_vcc 1
		.amdhsa_float_round_mode_32 0
		.amdhsa_float_round_mode_16_64 0
		.amdhsa_float_denorm_mode_32 3
		.amdhsa_float_denorm_mode_16_64 3
		.amdhsa_fp16_overflow 0
		.amdhsa_memory_ordered 1
		.amdhsa_forward_progress 1
		.amdhsa_inst_pref_size 26
		.amdhsa_round_robin_scheduling 0
		.amdhsa_exception_fp_ieee_invalid_op 0
		.amdhsa_exception_fp_denorm_src 0
		.amdhsa_exception_fp_ieee_div_zero 0
		.amdhsa_exception_fp_ieee_overflow 0
		.amdhsa_exception_fp_ieee_underflow 0
		.amdhsa_exception_fp_ieee_inexact 0
		.amdhsa_exception_int_div_zero 0
	.end_amdhsa_kernel
	.section	.text._ZL33flash_attn_stream_k_fixup_generalILi256ELi1ELi32EEvPfPK15HIP_vector_typeIfLj2EEiiiiS1_IjLj3EES5_S5_S5_,"axG",@progbits,_ZL33flash_attn_stream_k_fixup_generalILi256ELi1ELi32EEvPfPK15HIP_vector_typeIfLj2EEiiiiS1_IjLj3EES5_S5_S5_,comdat
.Lfunc_end3:
	.size	_ZL33flash_attn_stream_k_fixup_generalILi256ELi1ELi32EEvPfPK15HIP_vector_typeIfLj2EEiiiiS1_IjLj3EES5_S5_S5_, .Lfunc_end3-_ZL33flash_attn_stream_k_fixup_generalILi256ELi1ELi32EEvPfPK15HIP_vector_typeIfLj2EEiiiiS1_IjLj3EES5_S5_S5_
                                        ; -- End function
	.set _ZL33flash_attn_stream_k_fixup_generalILi256ELi1ELi32EEvPfPK15HIP_vector_typeIfLj2EEiiiiS1_IjLj3EES5_S5_S5_.num_vgpr, 12
	.set _ZL33flash_attn_stream_k_fixup_generalILi256ELi1ELi32EEvPfPK15HIP_vector_typeIfLj2EEiiiiS1_IjLj3EES5_S5_S5_.num_agpr, 0
	.set _ZL33flash_attn_stream_k_fixup_generalILi256ELi1ELi32EEvPfPK15HIP_vector_typeIfLj2EEiiiiS1_IjLj3EES5_S5_S5_.numbered_sgpr, 46
	.set _ZL33flash_attn_stream_k_fixup_generalILi256ELi1ELi32EEvPfPK15HIP_vector_typeIfLj2EEiiiiS1_IjLj3EES5_S5_S5_.num_named_barrier, 0
	.set _ZL33flash_attn_stream_k_fixup_generalILi256ELi1ELi32EEvPfPK15HIP_vector_typeIfLj2EEiiiiS1_IjLj3EES5_S5_S5_.private_seg_size, 0
	.set _ZL33flash_attn_stream_k_fixup_generalILi256ELi1ELi32EEvPfPK15HIP_vector_typeIfLj2EEiiiiS1_IjLj3EES5_S5_S5_.uses_vcc, 1
	.set _ZL33flash_attn_stream_k_fixup_generalILi256ELi1ELi32EEvPfPK15HIP_vector_typeIfLj2EEiiiiS1_IjLj3EES5_S5_S5_.uses_flat_scratch, 0
	.set _ZL33flash_attn_stream_k_fixup_generalILi256ELi1ELi32EEvPfPK15HIP_vector_typeIfLj2EEiiiiS1_IjLj3EES5_S5_S5_.has_dyn_sized_stack, 0
	.set _ZL33flash_attn_stream_k_fixup_generalILi256ELi1ELi32EEvPfPK15HIP_vector_typeIfLj2EEiiiiS1_IjLj3EES5_S5_S5_.has_recursion, 0
	.set _ZL33flash_attn_stream_k_fixup_generalILi256ELi1ELi32EEvPfPK15HIP_vector_typeIfLj2EEiiiiS1_IjLj3EES5_S5_S5_.has_indirect_call, 0
	.section	.AMDGPU.csdata,"",@progbits
; Kernel info:
; codeLenInByte = 3328
; TotalNumSgprs: 48
; NumVgprs: 12
; ScratchSize: 0
; MemoryBound: 0
; FloatMode: 240
; IeeeMode: 1
; LDSByteSize: 0 bytes/workgroup (compile time only)
; SGPRBlocks: 0
; VGPRBlocks: 0
; NumSGPRsForWavesPerEU: 48
; NumVGPRsForWavesPerEU: 12
; NamedBarCnt: 0
; Occupancy: 16
; WaveLimiterHint : 0
; COMPUTE_PGM_RSRC2:SCRATCH_EN: 0
; COMPUTE_PGM_RSRC2:USER_SGPR: 2
; COMPUTE_PGM_RSRC2:TRAP_HANDLER: 0
; COMPUTE_PGM_RSRC2:TGID_X_EN: 1
; COMPUTE_PGM_RSRC2:TGID_Y_EN: 1
; COMPUTE_PGM_RSRC2:TGID_Z_EN: 1
; COMPUTE_PGM_RSRC2:TIDIG_COMP_CNT: 0
	.section	.text._ZL26flash_attn_combine_resultsILi256EEvPKfPK15HIP_vector_typeIfLj2EEPfi,"axG",@progbits,_ZL26flash_attn_combine_resultsILi256EEvPKfPK15HIP_vector_typeIfLj2EEPfi,comdat
	.globl	_ZL26flash_attn_combine_resultsILi256EEvPKfPK15HIP_vector_typeIfLj2EEPfi ; -- Begin function _ZL26flash_attn_combine_resultsILi256EEvPKfPK15HIP_vector_typeIfLj2EEPfi
	.p2align	8
	.type	_ZL26flash_attn_combine_resultsILi256EEvPKfPK15HIP_vector_typeIfLj2EEPfi,@function
_ZL26flash_attn_combine_resultsILi256EEvPKfPK15HIP_vector_typeIfLj2EEPfi: ; @_ZL26flash_attn_combine_resultsILi256EEvPKfPK15HIP_vector_typeIfLj2EEPfi
; %bb.0:
	s_clause 0x2
	s_load_b128 s[4:7], s[0:1], 0x0
	s_load_b96 s[8:10], s[0:1], 0x10
	s_load_b64 s[2:3], s[0:1], 0x20
	s_bfe_u32 s11, ttmp6, 0x4000c
	s_wait_xcnt 0x0
	s_and_b32 s0, ttmp6, 15
	s_add_co_i32 s11, s11, 1
	s_and_b32 s12, ttmp7, 0xffff
	s_mul_i32 s1, ttmp9, s11
	s_bfe_u32 s11, ttmp6, 0x40010
	s_bfe_u32 s13, ttmp6, 0x40014
	s_add_co_i32 s11, s11, 1
	s_add_co_i32 s0, s0, s1
	s_mul_i32 s1, s12, s11
	s_bfe_u32 s11, ttmp6, 0x40004
	s_lshr_b32 s14, ttmp7, 16
	s_add_co_i32 s13, s13, 1
	s_add_co_i32 s11, s11, s1
	s_mul_i32 s1, s14, s13
	s_bfe_u32 s13, ttmp6, 0x40008
	s_getreg_b32 s15, hwreg(HW_REG_IB_STS2, 6, 4)
	s_add_co_i32 s13, s13, s1
	s_cmp_eq_u32 s15, 0
	v_mov_b32_e32 v2, v0
	s_cselect_b32 s1, s14, s13
	s_cselect_b32 s0, ttmp9, s0
	s_wait_kmcnt 0x0
	s_mul_i32 s1, s2, s1
	s_cselect_b32 s2, s12, s11
	s_add_co_i32 s0, s1, s0
	s_lshl_b32 s12, s10, 1
	s_mul_i32 s11, s0, s3
	s_mov_b32 s13, exec_lo
	s_add_co_i32 s11, s11, s2
	s_delay_alu instid0(SALU_CYCLE_1)
	s_mul_i32 s2, s11, s10
	v_cmpx_gt_i32_e64 s12, v0
	s_cbranch_execz .LBB4_13
; %bb.1:
	v_xad_u32 v1, v0, -1, s12
	s_ashr_i32 s3, s2, 31
	s_mov_b32 s0, -1
	s_mov_b32 s14, exec_lo
	s_delay_alu instid0(VALU_DEP_1)
	v_cmpx_lt_u32_e32 0xff, v1
	s_cbranch_execz .LBB4_10
; %bb.2:
	v_lshrrev_b32_e32 v6, 8, v1
	v_or_b32_e32 v1, 0x100, v0
	s_lshl_b64 s[0:1], s[2:3], 3
	v_mov_b32_e32 v4, 0
	s_add_nc_u64 s[0:1], s[6:7], s[0:1]
	v_add_nc_u32_e32 v2, -1, v6
	s_delay_alu instid0(VALU_DEP_1) | instskip(SKIP_1) | instid1(VALU_DEP_2)
	v_lshrrev_b32_e32 v3, 1, v2
	v_cmp_lt_u32_e32 vcc_lo, 13, v2
	v_add_nc_u32_e32 v7, 1, v3
	v_mov_b64_e32 v[2:3], v[0:1]
	s_and_saveexec_b32 s15, vcc_lo
	s_cbranch_execz .LBB4_6
; %bb.3:
	v_mov_b64_e32 v[2:3], v[0:1]
	v_dual_mov_b32 v5, 0 :: v_dual_bitop2_b32 v8, -8, v7 bitop3:0x40
	v_lshl_add_u32 v9, v0, 2, 0
	s_mov_b32 s16, 0
	s_mov_b32 s17, 0
.LBB4_4:                                ; =>This Inner Loop Header: Depth=1
	s_delay_alu instid0(VALU_DEP_2) | instskip(NEXT) | instid1(VALU_DEP_4)
	v_dual_mov_b32 v4, v2 :: v_dual_mov_b32 v11, v5
	v_dual_mov_b32 v13, v5 :: v_dual_add_nc_u32 v10, 0x200, v3
	v_dual_mov_b32 v15, v5 :: v_dual_add_nc_u32 v12, 0x400, v3
	s_delay_alu instid0(VALU_DEP_3) | instskip(SKIP_1) | instid1(VALU_DEP_4)
	v_lshl_add_u64 v[24:25], v[4:5], 2, s[0:1]
	v_dual_mov_b32 v4, v3 :: v_dual_add_nc_u32 v8, -8, v8
	v_lshl_add_u64 v[10:11], v[10:11], 2, s[0:1]
	v_dual_mov_b32 v17, v5 :: v_dual_add_nc_u32 v14, 0x600, v3
	s_delay_alu instid0(VALU_DEP_3)
	v_lshl_add_u64 v[26:27], v[4:5], 2, s[0:1]
	v_add_nc_u32_e32 v4, 0x200, v2
	global_load_b32 v1, v[24:25], off
	v_lshl_add_u64 v[12:13], v[12:13], 2, s[0:1]
	v_dual_mov_b32 v19, v5 :: v_dual_add_nc_u32 v16, 0x800, v3
	global_load_b32 v28, v[26:27], off
	s_wait_xcnt 0x1
	v_lshl_add_u64 v[24:25], v[4:5], 2, s[0:1]
	v_add_nc_u32_e32 v4, 0x400, v2
	s_clause 0x1
	global_load_b32 v29, v[24:25], off
	global_load_b32 v30, v[10:11], off
	s_wait_xcnt 0x2
	v_lshl_add_u64 v[26:27], v[4:5], 2, s[0:1]
	v_add_nc_u32_e32 v4, 0x600, v2
	s_clause 0x1
	global_load_b32 v24, v[26:27], off
	global_load_b32 v25, v[12:13], off
	s_wait_xcnt 0x2
	v_lshl_add_u64 v[10:11], v[4:5], 2, s[0:1]
	v_add_nc_u32_e32 v4, 0x800, v2
	v_lshl_add_u64 v[14:15], v[14:15], 2, s[0:1]
	s_clause 0x1
	global_load_b32 v26, v[10:11], off
	global_load_b32 v27, v[14:15], off
	s_wait_xcnt 0x2
	v_lshl_add_u64 v[12:13], v[4:5], 2, s[0:1]
	v_add_nc_u32_e32 v4, 0xa00, v2
	v_dual_mov_b32 v21, v5 :: v_dual_add_nc_u32 v18, 0xa00, v3
	v_lshl_add_u64 v[16:17], v[16:17], 2, s[0:1]
	v_dual_mov_b32 v23, v5 :: v_dual_add_nc_u32 v20, 0xc00, v3
	s_wait_xcnt 0x1
	v_lshl_add_u64 v[10:11], v[4:5], 2, s[0:1]
	v_add_nc_u32_e32 v4, 0xc00, v2
	s_clause 0x1
	global_load_b32 v14, v[12:13], off
	global_load_b32 v15, v[16:17], off
	v_add_nc_u32_e32 v22, 0xe00, v3
	v_lshl_add_u64 v[18:19], v[18:19], 2, s[0:1]
	v_lshl_add_u64 v[20:21], v[20:21], 2, s[0:1]
	s_wait_xcnt 0x1
	v_lshl_add_u64 v[12:13], v[4:5], 2, s[0:1]
	v_add_nc_u32_e32 v4, 0xe00, v2
	s_clause 0x1
	global_load_b32 v16, v[10:11], off
	global_load_b32 v17, v[18:19], off
	v_lshl_add_u64 v[22:23], v[22:23], 2, s[0:1]
	s_add_co_i32 s17, s17, 16
	v_cmp_eq_u32_e32 vcc_lo, 0, v8
	s_wait_xcnt 0x1
	v_lshl_add_u64 v[10:11], v[4:5], 2, s[0:1]
	s_clause 0x3
	global_load_b32 v18, v[12:13], off
	global_load_b32 v19, v[20:21], off
	;; [unrolled: 1-line block ×4, first 2 shown]
	v_dual_mov_b32 v4, s17 :: v_dual_add_nc_u32 v3, 0x1000, v3
	v_add_nc_u32_e32 v2, 0x1000, v2
	s_or_b32 s16, vcc_lo, s16
	s_wait_loadcnt 0xe
	ds_store_2addr_stride64_b32 v9, v1, v28 offset1:4
	s_wait_loadcnt 0xc
	ds_store_2addr_stride64_b32 v9, v29, v30 offset0:8 offset1:12
	s_wait_loadcnt 0xa
	ds_store_2addr_stride64_b32 v9, v24, v25 offset0:16 offset1:20
	s_wait_loadcnt 0x8
	ds_store_2addr_stride64_b32 v9, v26, v27 offset0:24 offset1:28
	s_wait_loadcnt 0x6
	ds_store_2addr_stride64_b32 v9, v14, v15 offset0:32 offset1:36
	s_wait_loadcnt 0x4
	ds_store_2addr_stride64_b32 v9, v16, v17 offset0:40 offset1:44
	s_wait_loadcnt 0x2
	ds_store_2addr_stride64_b32 v9, v18, v19 offset0:48 offset1:52
	s_wait_loadcnt 0x0
	ds_store_2addr_stride64_b32 v9, v31, v32 offset0:56 offset1:60
	v_add_nc_u32_e32 v9, 0x4000, v9
	s_wait_xcnt 0x0
	s_and_not1_b32 exec_lo, exec_lo, s16
	s_cbranch_execnz .LBB4_4
; %bb.5:
	s_or_b32 exec_lo, exec_lo, s16
.LBB4_6:
	s_delay_alu instid0(SALU_CYCLE_1) | instskip(SKIP_3) | instid1(VALU_DEP_1)
	s_or_b32 exec_lo, exec_lo, s15
	v_and_b32_e32 v1, 7, v7
	s_mov_b32 s16, 0
	s_mov_b32 s15, exec_lo
	v_cmpx_ne_u32_e32 0, v1
	s_cbranch_execz .LBB4_9
; %bb.7:
	v_lshlrev_b32_e32 v5, 2, v0
	s_delay_alu instid0(VALU_DEP_1) | instskip(NEXT) | instid1(VALU_DEP_1)
	v_lshl_or_b32 v4, v4, 10, v5
	v_dual_mov_b32 v5, 0 :: v_dual_add_nc_u32 v7, 0, v4
.LBB4_8:                                ; =>This Inner Loop Header: Depth=1
	v_dual_mov_b32 v4, v2 :: v_dual_add_nc_u32 v1, -1, v1
	v_add_nc_u32_e32 v2, 0x200, v2
	s_delay_alu instid0(VALU_DEP_2) | instskip(SKIP_1) | instid1(VALU_DEP_4)
	v_lshl_add_u64 v[8:9], v[4:5], 2, s[0:1]
	v_dual_mov_b32 v4, v3 :: v_dual_add_nc_u32 v3, 0x200, v3
	v_cmp_eq_u32_e32 vcc_lo, 0, v1
	s_delay_alu instid0(VALU_DEP_2)
	v_lshl_add_u64 v[10:11], v[4:5], 2, s[0:1]
	s_clause 0x1
	global_load_b32 v4, v[8:9], off
	global_load_b32 v12, v[10:11], off
	s_or_b32 s16, vcc_lo, s16
	s_wait_loadcnt 0x0
	ds_store_2addr_stride64_b32 v7, v4, v12 offset1:4
	v_add_nc_u32_e32 v7, 0x800, v7
	s_and_not1_b32 exec_lo, exec_lo, s16
	s_cbranch_execnz .LBB4_8
.LBB4_9:
	s_or_b32 exec_lo, exec_lo, s15
	v_add_nc_u32_e32 v1, 1, v6
	s_delay_alu instid0(VALU_DEP_1) | instskip(NEXT) | instid1(VALU_DEP_1)
	v_and_b32_e32 v2, 0x1fffffe, v1
	v_cmp_ne_u32_e32 vcc_lo, v1, v2
	v_lshl_or_b32 v2, v2, 8, v0
	s_or_not1_b32 s0, vcc_lo, exec_lo
.LBB4_10:
	s_or_b32 exec_lo, exec_lo, s14
	s_delay_alu instid0(SALU_CYCLE_1)
	s_and_b32 exec_lo, exec_lo, s0
	s_cbranch_execz .LBB4_13
; %bb.11:
	v_mov_b32_e32 v3, 0
	s_lshl_b64 s[0:1], s[2:3], 3
	v_lshl_add_u32 v1, v2, 2, 0
	s_add_nc_u64 s[0:1], s[6:7], s[0:1]
	s_delay_alu instid0(VALU_DEP_2) | instid1(SALU_CYCLE_1)
	v_lshl_add_u64 v[4:5], v[2:3], 2, s[0:1]
	s_mov_b32 s0, 0
.LBB4_12:                               ; =>This Inner Loop Header: Depth=1
	global_load_b32 v3, v[4:5], off
	v_add_nc_u32_e32 v2, 0x100, v2
	s_wait_xcnt 0x0
	v_add_nc_u64_e32 v[4:5], 0x400, v[4:5]
	s_delay_alu instid0(VALU_DEP_2)
	v_cmp_le_i32_e32 vcc_lo, s12, v2
	s_or_b32 s0, vcc_lo, s0
	s_wait_loadcnt 0x0
	ds_store_b32 v1, v3
	v_add_nc_u32_e32 v1, 0x400, v1
	s_and_not1_b32 exec_lo, exec_lo, s0
	s_cbranch_execnz .LBB4_12
.LBB4_13:
	s_or_b32 exec_lo, exec_lo, s13
	v_mov_b32_e32 v1, 0
	s_wait_dscnt 0x0
	s_barrier_signal -1
	s_barrier_wait -1
	ds_load_b32 v1, v1
	s_cmp_lt_i32 s10, 2
	s_wait_dscnt 0x0
	v_readfirstlane_b32 s3, v1
	s_cbranch_scc1 .LBB4_21
; %bb.14:
	s_cmp_eq_u32 s10, 2
	s_cbranch_scc1 .LBB4_18
; %bb.15:
	v_dual_mov_b32 v3, s3 :: v_dual_mov_b32 v4, s3
	s_add_co_i32 s1, s10, -1
	s_add_co_i32 s7, 0, 8
	s_and_b32 s3, s1, -2
	s_mov_b32 s6, 2
.LBB4_16:                               ; =>This Inner Loop Header: Depth=1
	v_dual_mov_b32 v1, s7 :: v_dual_mov_b32 v2, v3
	s_cmp_lg_u32 s3, s6
	s_cselect_b32 s12, -1, 0
	ds_load_2addr_b32 v[6:7], v1 offset1:2
	v_dual_mov_b32 v1, v4 :: v_dual_max_num_f32 v5, v2, v2
	s_delay_alu instid0(VALU_DEP_1)
	v_max_num_f32_e32 v3, v1, v1
	s_wait_dscnt 0x0
	v_cmp_u_f32_e32 vcc_lo, v7, v7
	v_max_num_f32_e32 v7, v7, v7
	v_cndmask_b32_e64 v4, 0, 1, vcc_lo
	v_cmp_u_f32_e32 vcc_lo, v6, v6
	v_max_num_f32_e32 v6, v6, v6
	s_delay_alu instid0(VALU_DEP_3) | instskip(SKIP_1) | instid1(VALU_DEP_3)
	v_readfirstlane_b32 s0, v4
	v_cndmask_b32_e64 v8, 0, 1, vcc_lo
	v_dual_max_num_f32 v4, v3, v7 :: v_dual_max_num_f32 v3, v5, v6
	s_lshl_b32 s0, s0, 1
	s_delay_alu instid0(VALU_DEP_2) | instskip(SKIP_1) | instid1(SALU_CYCLE_1)
	v_readfirstlane_b32 s13, v8
	s_or_b32 s0, s13, s0
	s_and_b32 s13, s0, 3
	s_delay_alu instid0(SALU_CYCLE_1)
	s_cmp_lg_u32 s13, 0
	s_cselect_b32 s0, -1, 0
	s_cmp_eq_u32 s13, 0
	s_cselect_b32 s13, -1, 0
	s_add_co_i32 s6, s6, 2
	s_and_b32 s12, s13, s12
	s_add_co_i32 s7, s7, 16
	s_and_b32 vcc_lo, exec_lo, s12
	s_cbranch_vccnz .LBB4_16
; %bb.17:
	v_dual_cndmask_b32 v2, v3, v2, s0 :: v_dual_cndmask_b32 v1, v4, v1, s0
	s_add_co_i32 s6, s6, -4
	s_and_b32 s7, s0, exec_lo
	s_cselect_b32 s6, s6, s1
	s_delay_alu instid0(VALU_DEP_1) | instskip(SKIP_3) | instid1(VALU_DEP_1)
	v_dual_max_num_f32 v2, v2, v2 :: v_dual_max_num_f32 v1, v1, v1
	s_or_b32 s6, s6, 1
	s_cmp_lg_u32 s1, s3
	s_cselect_b32 s1, -1, 0
	v_readfirstlane_b32 s7, v2
	v_readfirstlane_b32 s12, v1
	s_or_b32 s0, s1, s0
	s_max_num_f32 s3, s7, s12
	s_and_b32 vcc_lo, exec_lo, s0
	s_cbranch_vccnz .LBB4_19
	s_branch .LBB4_21
.LBB4_18:
	s_mov_b32 s6, 1
	s_cbranch_execz .LBB4_21
.LBB4_19:
	s_lshl_b32 s1, s6, 3
	s_sub_co_i32 s0, s10, s6
	s_add_co_i32 s1, s1, 0
.LBB4_20:                               ; =>This Inner Loop Header: Depth=1
	s_delay_alu instid0(SALU_CYCLE_1) | instskip(NEXT) | instid1(SALU_CYCLE_1)
	v_mov_b32_e32 v1, s1
	v_max_num_f32_e64 v2, s3, s3
	s_add_co_i32 s0, s0, -1
	s_add_co_i32 s1, s1, 8
	s_cmp_eq_u32 s0, 0
	ds_load_b32 v1, v1
	v_readfirstlane_b32 s3, v2
	s_wait_dscnt 0x0
	v_max_num_f32_e32 v1, v1, v1
	s_delay_alu instid0(VALU_DEP_1)
	v_readfirstlane_b32 s6, v1
	s_max_num_f32 s3, s3, s6
	s_cbranch_scc0 .LBB4_20
.LBB4_21:
	s_cmp_lt_i32 s10, 1
	s_cbranch_scc1 .LBB4_26
; %bb.22:
	s_lshl_b32 s0, s2, 8
	s_delay_alu instid0(SALU_CYCLE_1) | instskip(NEXT) | instid1(SALU_CYCLE_1)
	s_ashr_i32 s1, s0, 31
	s_lshl_b64 s[0:1], s[0:1], 2
	s_cmp_lt_u32 s10, 8
	s_add_nc_u64 s[0:1], s[4:5], s[0:1]
	s_cbranch_scc1 .LBB4_27
; %bb.23:
	v_mov_b32_e32 v2, 0
	v_or_b32_e32 v1, 0x700, v0
	s_and_b32 s2, s10, 0x7ffffff8
	s_mov_b32 s4, 0
	s_mov_b32 s5, 0
	v_mov_b32_e32 v3, v2
.LBB4_24:                               ; =>This Inner Loop Header: Depth=1
	v_add_nc_u32_e32 v4, 0xfffff900, v1
	v_dual_mov_b32 v16, s5 :: v_dual_add_nc_u32 v5, 0xfffffa00, v1
	s_clause 0x1
	global_load_b32 v21, v4, s[0:1] scale_offset
	global_load_b32 v23, v5, s[0:1] scale_offset
	s_wait_xcnt 0x1
	v_add_nc_u32_e32 v4, 0xfffffb00, v1
	s_wait_xcnt 0x0
	v_add_nc_u32_e32 v5, 0xfffffc00, v1
	s_clause 0x1
	global_load_b32 v25, v4, s[0:1] scale_offset
	global_load_b32 v27, v5, s[0:1] scale_offset
	s_wait_xcnt 0x1
	v_add_nc_u32_e32 v4, 0xfffffd00, v1
	s_wait_xcnt 0x0
	v_add_nc_u32_e32 v5, 0xfffffe00, v1
	global_load_b32 v29, v4, s[0:1] scale_offset
	s_wait_xcnt 0x0
	v_add_nc_u32_e32 v4, 0xffffff00, v1
	s_clause 0x2
	global_load_b32 v31, v5, s[0:1] scale_offset
	global_load_b32 v33, v4, s[0:1] scale_offset
	;; [unrolled: 1-line block ×3, first 2 shown]
	s_wait_xcnt 0x1
	ds_load_2addr_b64 v[4:7], v16 offset1:1
	ds_load_2addr_b64 v[8:11], v16 offset0:2 offset1:3
	ds_load_2addr_b64 v[12:15], v16 offset0:4 offset1:5
	;; [unrolled: 1-line block ×3, first 2 shown]
	s_wait_xcnt 0x0
	v_add_nc_u32_e32 v1, 0x800, v1
	s_wait_dscnt 0x3
	v_readfirstlane_b32 s6, v4
	v_readfirstlane_b32 s7, v6
	s_wait_dscnt 0x2
	v_readfirstlane_b32 s12, v8
	v_dual_mov_b32 v20, v5 :: v_dual_mov_b32 v26, v11
	s_sub_f32 s6, s6, s3
	s_sub_f32 s7, s7, s3
	s_sub_f32 s12, s12, s3
	v_readfirstlane_b32 s13, v10
	s_mul_f32 s18, s6, 0x3fb8aa3b
	s_mul_f32 s19, s7, 0x3fb8aa3b
	;; [unrolled: 1-line block ×3, first 2 shown]
	s_wait_dscnt 0x1
	v_readfirstlane_b32 s14, v12
	s_xor_b32 s26, s18, 0x80000000
	s_rndne_f32 s27, s18
	s_fmamk_f32 s26, s6, 0x3fb8aa3b, s26
	s_cmp_nlt_f32 s6, 0xc2ce8ed0
	s_rndne_f32 s28, s19
	s_sub_f32 s18, s18, s27
	s_fmamk_f32 s26, s6, 0x32a5705f, s26
	s_cvt_i32_f32 s27, s27
	s_cselect_b32 vcc_lo, -1, 0
	s_cmp_ngt_f32 s6, 0x42b17218
	s_add_f32 s18, s18, s26
	s_sub_f32 s36, s19, s28
	s_cvt_i32_f32 s28, s28
	s_rndne_f32 s29, s20
	v_s_exp_f32 s18, s18
	s_sub_f32 s13, s13, s3
	s_sub_f32 s14, s14, s3
	;; [unrolled: 1-line block ×3, first 2 shown]
	s_cvt_i32_f32 s29, s29
	s_mul_f32 s21, s13, 0x3fb8aa3b
	s_mul_f32 s22, s14, 0x3fb8aa3b
	v_readfirstlane_b32 s15, v14
	v_ldexp_f32 v4, s18, s27
	s_wait_dscnt 0x0
	v_mov_b32_e32 v32, v17
	s_rndne_f32 s30, s21
	s_rndne_f32 s31, s22
	s_sub_f32 s15, s15, s3
	v_cndmask_b32_e32 v4, 0, v4, vcc_lo
	s_cselect_b32 vcc_lo, -1, 0
	s_xor_b32 s6, s19, 0x80000000
	s_cmp_nlt_f32 s7, 0xc2ce8ed0
	s_fmamk_f32 s6, s7, 0x3fb8aa3b, s6
	v_cndmask_b32_e32 v4, 0x7f800000, v4, vcc_lo
	s_sub_f32 s38, s21, s30
	s_cselect_b32 vcc_lo, -1, 0
	s_fmamk_f32 s6, s7, 0x32a5705f, s6
	s_cmp_ngt_f32 s7, 0x42b17218
	s_cvt_i32_f32 s30, s30
	s_sub_f32 s39, s22, s31
	s_add_f32 s6, s36, s6
	s_cvt_i32_f32 s31, s31
	s_mul_f32 s23, s15, 0x3fb8aa3b
	v_readfirstlane_b32 s16, v16
	v_s_exp_f32 s6, s6
	v_readfirstlane_b32 s17, v18
	s_rndne_f32 s33, s23
	v_mov_b32_e32 v22, v7
	s_sub_f32 s16, s16, s3
	v_mov_b32_e32 v34, v19
	s_sub_f32 s40, s23, s33
	s_cvt_i32_f32 s33, s33
	v_ldexp_f32 v5, s6, s28
	s_mul_f32 s24, s16, 0x3fb8aa3b
	s_sub_f32 s17, s17, s3
	v_dual_mov_b32 v24, v9 :: v_dual_mov_b32 v28, v13
	s_delay_alu instid0(VALU_DEP_2)
	v_dual_mov_b32 v30, v15 :: v_dual_cndmask_b32 v5, 0, v5
	s_cselect_b32 vcc_lo, -1, 0
	s_xor_b32 s6, s20, 0x80000000
	s_cmp_nlt_f32 s12, 0xc2ce8ed0
	s_fmamk_f32 s6, s12, 0x3fb8aa3b, s6
	v_cndmask_b32_e32 v6, 0x7f800000, v5, vcc_lo
	s_rndne_f32 s34, s24
	s_cselect_b32 vcc_lo, -1, 0
	s_fmamk_f32 s6, s12, 0x32a5705f, s6
	s_cmp_ngt_f32 s12, 0x42b17218
	s_sub_f32 s41, s24, s34
	s_cvt_i32_f32 s34, s34
	s_add_f32 s6, s37, s6
	s_mul_f32 s25, s17, 0x3fb8aa3b
	s_delay_alu instid0(SALU_CYCLE_2) | instskip(NEXT) | instid1(SALU_CYCLE_2)
	v_s_exp_f32 s6, s6
	s_rndne_f32 s35, s25
	s_delay_alu instid0(SALU_CYCLE_3) | instskip(SKIP_2) | instid1(TRANS32_DEP_1)
	s_sub_f32 s42, s25, s35
	s_cvt_i32_f32 s35, s35
	v_nop
	v_ldexp_f32 v5, s6, s29
	s_delay_alu instid0(VALU_DEP_1)
	v_cndmask_b32_e32 v5, 0, v5, vcc_lo
	s_cselect_b32 vcc_lo, -1, 0
	s_xor_b32 s6, s21, 0x80000000
	s_cmp_nlt_f32 s13, 0xc2ce8ed0
	s_fmamk_f32 s6, s13, 0x3fb8aa3b, s6
	v_cndmask_b32_e32 v8, 0x7f800000, v5, vcc_lo
	s_cselect_b32 vcc_lo, -1, 0
	s_delay_alu instid0(SALU_CYCLE_1) | instskip(SKIP_1) | instid1(SALU_CYCLE_2)
	s_fmamk_f32 s6, s13, 0x32a5705f, s6
	s_cmp_ngt_f32 s13, 0x42b17218
	s_add_f32 s6, s38, s6
	s_delay_alu instid0(SALU_CYCLE_3) | instskip(SKIP_1) | instid1(TRANS32_DEP_1)
	v_s_exp_f32 s6, s6
	v_nop
	v_ldexp_f32 v5, s6, s30
	s_delay_alu instid0(VALU_DEP_1)
	v_cndmask_b32_e32 v5, 0, v5, vcc_lo
	s_cselect_b32 vcc_lo, -1, 0
	s_xor_b32 s6, s22, 0x80000000
	s_cmp_nlt_f32 s14, 0xc2ce8ed0
	s_fmamk_f32 s6, s14, 0x3fb8aa3b, s6
	v_cndmask_b32_e32 v10, 0x7f800000, v5, vcc_lo
	s_cselect_b32 vcc_lo, -1, 0
	s_delay_alu instid0(SALU_CYCLE_1) | instskip(SKIP_1) | instid1(SALU_CYCLE_2)
	s_fmamk_f32 s6, s14, 0x32a5705f, s6
	s_cmp_ngt_f32 s14, 0x42b17218
	s_add_f32 s6, s39, s6
	s_delay_alu instid0(SALU_CYCLE_3) | instskip(SKIP_1) | instid1(TRANS32_DEP_1)
	v_s_exp_f32 s6, s6
	;; [unrolled: 16-line block ×4, first 2 shown]
	v_nop
	v_ldexp_f32 v5, s6, s34
	s_delay_alu instid0(VALU_DEP_1) | instskip(SKIP_4) | instid1(SALU_CYCLE_3)
	v_cndmask_b32_e32 v5, 0, v5, vcc_lo
	s_cselect_b32 vcc_lo, -1, 0
	s_xor_b32 s6, s25, 0x80000000
	s_cmp_nlt_f32 s17, 0xc2ce8ed0
	s_fmamk_f32 s6, s17, 0x3fb8aa3b, s6
	s_fmamk_f32 s6, s17, 0x32a5705f, s6
	s_delay_alu instid0(SALU_CYCLE_3) | instskip(NEXT) | instid1(SALU_CYCLE_3)
	s_add_f32 s6, s42, s6
	v_s_exp_f32 s6, s6
	s_wait_loadcnt 0x7
	v_pk_fma_f32 v[2:3], v[4:5], v[20:21], v[2:3] op_sel_hi:[0,1,1]
	v_cndmask_b32_e32 v4, 0x7f800000, v5, vcc_lo
	s_delay_alu instid0(TRANS32_DEP_1)
	v_ldexp_f32 v5, s6, s35
	s_cselect_b32 vcc_lo, -1, 0
	s_cmp_ngt_f32 s17, 0x42b17218
	s_wait_loadcnt 0x6
	v_pk_fma_f32 v[2:3], v[6:7], v[22:23], v[2:3] op_sel_hi:[0,1,1]
	v_cndmask_b32_e32 v5, 0, v5, vcc_lo
	s_cselect_b32 vcc_lo, -1, 0
	s_add_co_i32 s4, s4, 8
	s_wait_loadcnt 0x5
	v_pk_fma_f32 v[2:3], v[8:9], v[24:25], v[2:3] op_sel_hi:[0,1,1]
	s_add_co_i32 s5, s5, 64
	v_cndmask_b32_e32 v6, 0x7f800000, v5, vcc_lo
	s_cmp_eq_u32 s2, s4
	s_wait_loadcnt 0x4
	v_pk_fma_f32 v[2:3], v[10:11], v[26:27], v[2:3] op_sel_hi:[0,1,1]
	s_wait_loadcnt 0x3
	s_delay_alu instid0(VALU_DEP_1) | instskip(SKIP_1) | instid1(VALU_DEP_1)
	v_pk_fma_f32 v[2:3], v[12:13], v[28:29], v[2:3] op_sel_hi:[0,1,1]
	s_wait_loadcnt 0x2
	v_pk_fma_f32 v[2:3], v[14:15], v[30:31], v[2:3] op_sel_hi:[0,1,1]
	s_wait_loadcnt 0x1
	s_delay_alu instid0(VALU_DEP_1) | instskip(SKIP_1) | instid1(VALU_DEP_1)
	v_pk_fma_f32 v[2:3], v[4:5], v[32:33], v[2:3] op_sel_hi:[0,1,1]
	s_wait_loadcnt 0x0
	v_pk_fma_f32 v[2:3], v[6:7], v[34:35], v[2:3] op_sel_hi:[0,1,1]
	s_cbranch_scc0 .LBB4_24
; %bb.25:
	s_and_b32 s4, s10, 7
	s_delay_alu instid0(SALU_CYCLE_1)
	s_cmp_eq_u32 s4, 0
	s_cbranch_scc0 .LBB4_28
	s_branch .LBB4_30
.LBB4_26:
	v_mov_b32_e32 v1, 0x7fc00000
	s_branch .LBB4_31
.LBB4_27:
	v_mov_b64_e32 v[2:3], 0
	s_mov_b32 s2, 0
	s_and_b32 s4, s10, 7
	s_delay_alu instid0(SALU_CYCLE_1)
	s_cmp_eq_u32 s4, 0
	s_cbranch_scc1 .LBB4_30
.LBB4_28:
	v_lshl_or_b32 v1, s2, 8, v0
	s_lshl_b32 s2, s2, 3
	s_delay_alu instid0(SALU_CYCLE_1)
	s_add_co_i32 s2, s2, 0
.LBB4_29:                               ; =>This Inner Loop Header: Depth=1
	global_load_b32 v5, v1, s[0:1] scale_offset
	s_wait_xcnt 0x0
	v_dual_mov_b32 v4, s2 :: v_dual_add_nc_u32 v1, 0x100, v1
	ds_load_b64 v[6:7], v4
	s_wait_dscnt 0x0
	v_readfirstlane_b32 s5, v6
	s_sub_f32 s5, s5, s3
	s_delay_alu instid0(SALU_CYCLE_3) | instskip(NEXT) | instid1(SALU_CYCLE_3)
	s_mul_f32 s6, s5, 0x3fb8aa3b
	s_xor_b32 s7, s6, 0x80000000
	s_rndne_f32 s10, s6
	s_fmamk_f32 s7, s5, 0x3fb8aa3b, s7
	s_cmp_nlt_f32 s5, 0xc2ce8ed0
	s_delay_alu instid0(SALU_CYCLE_1) | instskip(NEXT) | instid1(SALU_CYCLE_1)
	s_sub_f32 s6, s6, s10
	s_fmamk_f32 s7, s5, 0x32a5705f, s7
	s_cselect_b32 vcc_lo, -1, 0
	s_cmp_ngt_f32 s5, 0x42b17218
	s_delay_alu instid0(SALU_CYCLE_1) | instskip(SKIP_1) | instid1(SALU_CYCLE_2)
	s_add_f32 s6, s6, s7
	s_cvt_i32_f32 s7, s10
	v_s_exp_f32 s6, s6
	v_nop
	s_delay_alu instid0(TRANS32_DEP_1) | instid1(SALU_CYCLE_1)
	v_ldexp_f32 v4, s6, s7
	s_delay_alu instid0(VALU_DEP_1) | instskip(SKIP_3) | instid1(VALU_DEP_1)
	v_dual_cndmask_b32 v6, 0, v4, vcc_lo :: v_dual_mov_b32 v4, v7
	s_cselect_b32 vcc_lo, -1, 0
	s_add_co_i32 s4, s4, -1
	s_add_co_i32 s2, s2, 8
	v_cndmask_b32_e32 v6, 0x7f800000, v6, vcc_lo
	s_cmp_lg_u32 s4, 0
	s_wait_loadcnt 0x0
	s_delay_alu instid0(VALU_DEP_1)
	v_pk_fma_f32 v[2:3], v[6:7], v[4:5], v[2:3] op_sel_hi:[0,1,1]
	s_cbranch_scc1 .LBB4_29
.LBB4_30:
	s_delay_alu instid0(VALU_DEP_1) | instskip(NEXT) | instid1(VALU_DEP_1)
	v_div_scale_f32 v1, null, v2, v2, v3
	v_rcp_f32_e32 v4, v1
	v_nop
	s_delay_alu instid0(TRANS32_DEP_1) | instskip(NEXT) | instid1(VALU_DEP_1)
	v_fma_f32 v5, -v1, v4, 1.0
	v_fmac_f32_e32 v4, v5, v4
	v_div_scale_f32 v5, vcc_lo, v3, v2, v3
	s_delay_alu instid0(VALU_DEP_1) | instskip(NEXT) | instid1(VALU_DEP_1)
	v_mul_f32_e32 v6, v5, v4
	v_fma_f32 v7, -v1, v6, v5
	s_delay_alu instid0(VALU_DEP_1) | instskip(NEXT) | instid1(VALU_DEP_1)
	v_fmac_f32_e32 v6, v7, v4
	v_fma_f32 v1, -v1, v6, v5
	s_delay_alu instid0(VALU_DEP_1) | instskip(NEXT) | instid1(VALU_DEP_1)
	v_div_fmas_f32 v1, v1, v4, v6
	v_div_fixup_f32 v1, v1, v2, v3
.LBB4_31:
	s_lshl_b32 s0, s11, 8
	s_delay_alu instid0(SALU_CYCLE_1) | instskip(NEXT) | instid1(SALU_CYCLE_1)
	s_ashr_i32 s1, s0, 31
	s_lshl_b64 s[0:1], s[0:1], 2
	s_delay_alu instid0(SALU_CYCLE_1)
	s_add_nc_u64 s[0:1], s[8:9], s[0:1]
	global_store_b32 v0, v1, s[0:1] scale_offset
	s_endpgm
	.section	.rodata,"a",@progbits
	.p2align	6, 0x0
	.amdhsa_kernel _ZL26flash_attn_combine_resultsILi256EEvPKfPK15HIP_vector_typeIfLj2EEPfi
		.amdhsa_group_segment_fixed_size 0
		.amdhsa_private_segment_fixed_size 0
		.amdhsa_kernarg_size 288
		.amdhsa_user_sgpr_count 2
		.amdhsa_user_sgpr_dispatch_ptr 0
		.amdhsa_user_sgpr_queue_ptr 0
		.amdhsa_user_sgpr_kernarg_segment_ptr 1
		.amdhsa_user_sgpr_dispatch_id 0
		.amdhsa_user_sgpr_kernarg_preload_length 0
		.amdhsa_user_sgpr_kernarg_preload_offset 0
		.amdhsa_user_sgpr_private_segment_size 0
		.amdhsa_wavefront_size32 1
		.amdhsa_uses_dynamic_stack 0
		.amdhsa_enable_private_segment 0
		.amdhsa_system_sgpr_workgroup_id_x 1
		.amdhsa_system_sgpr_workgroup_id_y 1
		.amdhsa_system_sgpr_workgroup_id_z 1
		.amdhsa_system_sgpr_workgroup_info 0
		.amdhsa_system_vgpr_workitem_id 0
		.amdhsa_next_free_vgpr 36
		.amdhsa_next_free_sgpr 43
		.amdhsa_named_barrier_count 0
		.amdhsa_reserve_vcc 1
		.amdhsa_float_round_mode_32 0
		.amdhsa_float_round_mode_16_64 0
		.amdhsa_float_denorm_mode_32 3
		.amdhsa_float_denorm_mode_16_64 3
		.amdhsa_fp16_overflow 0
		.amdhsa_memory_ordered 1
		.amdhsa_forward_progress 1
		.amdhsa_inst_pref_size 29
		.amdhsa_round_robin_scheduling 0
		.amdhsa_exception_fp_ieee_invalid_op 0
		.amdhsa_exception_fp_denorm_src 0
		.amdhsa_exception_fp_ieee_div_zero 0
		.amdhsa_exception_fp_ieee_overflow 0
		.amdhsa_exception_fp_ieee_underflow 0
		.amdhsa_exception_fp_ieee_inexact 0
		.amdhsa_exception_int_div_zero 0
	.end_amdhsa_kernel
	.section	.text._ZL26flash_attn_combine_resultsILi256EEvPKfPK15HIP_vector_typeIfLj2EEPfi,"axG",@progbits,_ZL26flash_attn_combine_resultsILi256EEvPKfPK15HIP_vector_typeIfLj2EEPfi,comdat
.Lfunc_end4:
	.size	_ZL26flash_attn_combine_resultsILi256EEvPKfPK15HIP_vector_typeIfLj2EEPfi, .Lfunc_end4-_ZL26flash_attn_combine_resultsILi256EEvPKfPK15HIP_vector_typeIfLj2EEPfi
                                        ; -- End function
	.set _ZL26flash_attn_combine_resultsILi256EEvPKfPK15HIP_vector_typeIfLj2EEPfi.num_vgpr, 36
	.set _ZL26flash_attn_combine_resultsILi256EEvPKfPK15HIP_vector_typeIfLj2EEPfi.num_agpr, 0
	.set _ZL26flash_attn_combine_resultsILi256EEvPKfPK15HIP_vector_typeIfLj2EEPfi.numbered_sgpr, 43
	.set _ZL26flash_attn_combine_resultsILi256EEvPKfPK15HIP_vector_typeIfLj2EEPfi.num_named_barrier, 0
	.set _ZL26flash_attn_combine_resultsILi256EEvPKfPK15HIP_vector_typeIfLj2EEPfi.private_seg_size, 0
	.set _ZL26flash_attn_combine_resultsILi256EEvPKfPK15HIP_vector_typeIfLj2EEPfi.uses_vcc, 1
	.set _ZL26flash_attn_combine_resultsILi256EEvPKfPK15HIP_vector_typeIfLj2EEPfi.uses_flat_scratch, 0
	.set _ZL26flash_attn_combine_resultsILi256EEvPKfPK15HIP_vector_typeIfLj2EEPfi.has_dyn_sized_stack, 0
	.set _ZL26flash_attn_combine_resultsILi256EEvPKfPK15HIP_vector_typeIfLj2EEPfi.has_recursion, 0
	.set _ZL26flash_attn_combine_resultsILi256EEvPKfPK15HIP_vector_typeIfLj2EEPfi.has_indirect_call, 0
	.section	.AMDGPU.csdata,"",@progbits
; Kernel info:
; codeLenInByte = 3596
; TotalNumSgprs: 45
; NumVgprs: 36
; ScratchSize: 0
; MemoryBound: 0
; FloatMode: 240
; IeeeMode: 1
; LDSByteSize: 0 bytes/workgroup (compile time only)
; SGPRBlocks: 0
; VGPRBlocks: 2
; NumSGPRsForWavesPerEU: 45
; NumVGPRsForWavesPerEU: 36
; NamedBarCnt: 0
; Occupancy: 16
; WaveLimiterHint : 0
; COMPUTE_PGM_RSRC2:SCRATCH_EN: 0
; COMPUTE_PGM_RSRC2:USER_SGPR: 2
; COMPUTE_PGM_RSRC2:TRAP_HANDLER: 0
; COMPUTE_PGM_RSRC2:TGID_X_EN: 1
; COMPUTE_PGM_RSRC2:TGID_Y_EN: 1
; COMPUTE_PGM_RSRC2:TGID_Z_EN: 1
; COMPUTE_PGM_RSRC2:TIDIG_COMP_CNT: 0
	.section	.text._ZL15flash_attn_tileILi320ELi256ELi1ELi32ELb1EEvPKcS1_S1_S1_S1_PKiPfP15HIP_vector_typeIfLj2EEffffjfiS5_IjLj3EEiiiiiiiiiiiliiliiiiil,"axG",@progbits,_ZL15flash_attn_tileILi320ELi256ELi1ELi32ELb1EEvPKcS1_S1_S1_S1_PKiPfP15HIP_vector_typeIfLj2EEffffjfiS5_IjLj3EEiiiiiiiiiiiliiliiiiil,comdat
	.globl	_ZL15flash_attn_tileILi320ELi256ELi1ELi32ELb1EEvPKcS1_S1_S1_S1_PKiPfP15HIP_vector_typeIfLj2EEffffjfiS5_IjLj3EEiiiiiiiiiiiliiliiiiil ; -- Begin function _ZL15flash_attn_tileILi320ELi256ELi1ELi32ELb1EEvPKcS1_S1_S1_S1_PKiPfP15HIP_vector_typeIfLj2EEffffjfiS5_IjLj3EEiiiiiiiiiiiliiliiiiil
	.p2align	8
	.type	_ZL15flash_attn_tileILi320ELi256ELi1ELi32ELb1EEvPKcS1_S1_S1_S1_PKiPfP15HIP_vector_typeIfLj2EEffffjfiS5_IjLj3EEiiiiiiiiiiiliiliiiiil,@function
_ZL15flash_attn_tileILi320ELi256ELi1ELi32ELb1EEvPKcS1_S1_S1_S1_PKiPfP15HIP_vector_typeIfLj2EEffffjfiS5_IjLj3EEiiiiiiiiiiiliiliiiiil: ; @_ZL15flash_attn_tileILi320ELi256ELi1ELi32ELb1EEvPKcS1_S1_S1_S1_PKiPfP15HIP_vector_typeIfLj2EEffffjfiS5_IjLj3EEiiiiiiiiiiiliiliiiiil
; %bb.0:
	s_clause 0x1
	s_load_b128 s[20:23], s[0:1], 0x5c
	s_load_b64 s[28:29], s[0:1], 0x80
	s_bfe_u32 s5, ttmp6, 0x40014
	s_lshr_b32 s4, ttmp7, 16
	s_add_co_i32 s5, s5, 1
	s_bfe_u32 s6, ttmp6, 0x40008
	s_mul_i32 s5, s4, s5
	s_getreg_b32 s24, hwreg(HW_REG_IB_STS2, 6, 4)
	s_add_co_i32 s6, s6, s5
	s_load_b64 s[36:37], s[0:1], 0xb8
	s_mov_b32 s35, 0
	s_mov_b64 s[30:31], 0
	s_wait_kmcnt 0x0
	s_ashr_i32 s2, s23, 31
	s_delay_alu instid0(SALU_CYCLE_1) | instskip(NEXT) | instid1(SALU_CYCLE_1)
	s_lshr_b32 s2, s2, 27
	s_add_co_i32 s2, s23, s2
	s_delay_alu instid0(SALU_CYCLE_1) | instskip(NEXT) | instid1(SALU_CYCLE_1)
	s_ashr_i32 s2, s2, 5
	s_cvt_f32_u32 s3, s2
	s_sub_co_i32 s7, 0, s2
	s_delay_alu instid0(SALU_CYCLE_2) | instskip(SKIP_1) | instid1(TRANS32_DEP_1)
	v_rcp_iflag_f32_e32 v1, s3
	v_nop
	v_readfirstlane_b32 s3, v1
	s_mul_f32 s3, s3, 0x4f7ffffe
	s_delay_alu instid0(SALU_CYCLE_3) | instskip(NEXT) | instid1(SALU_CYCLE_3)
	s_cvt_u32_f32 s3, s3
	s_mul_i32 s7, s7, s3
	s_delay_alu instid0(SALU_CYCLE_1) | instskip(NEXT) | instid1(SALU_CYCLE_1)
	s_mul_hi_u32 s7, s3, s7
	s_add_co_i32 s3, s3, s7
	s_cmp_eq_u32 s24, 0
	s_cselect_b32 s4, s4, s6
	s_delay_alu instid0(SALU_CYCLE_1) | instskip(NEXT) | instid1(SALU_CYCLE_1)
	s_mul_hi_u32 s3, s4, s3
	s_mul_i32 s5, s3, s2
	s_add_co_i32 s6, s3, 1
	s_sub_co_i32 s5, s4, s5
	s_delay_alu instid0(SALU_CYCLE_1)
	s_sub_co_i32 s7, s5, s2
	s_cmp_ge_u32 s5, s2
	s_cselect_b32 s3, s6, s3
	s_cselect_b32 s5, s7, s5
	s_add_co_i32 s6, s3, 1
	s_cmp_ge_u32 s5, s2
	s_cselect_b32 s2, s6, s3
	s_abs_i32 s3, s29
	s_lshl_b32 s4, s4, 5
	s_cvt_f32_u32 s5, s3
	s_sub_co_i32 s6, 0, s3
	s_mul_i32 s7, s2, s23
	s_abs_i32 s8, s23
	v_rcp_iflag_f32_e32 v1, s5
	s_sub_co_i32 s33, s4, s7
	v_nop
	s_delay_alu instid0(TRANS32_DEP_1) | instskip(SKIP_1) | instid1(SALU_CYCLE_3)
	v_readfirstlane_b32 s5, v1
	s_mul_f32 s5, s5, 0x4f7ffffe
	s_cvt_u32_f32 s5, s5
	s_delay_alu instid0(SALU_CYCLE_3) | instskip(NEXT) | instid1(SALU_CYCLE_1)
	s_mul_i32 s6, s6, s5
	s_mul_hi_u32 s6, s5, s6
	s_delay_alu instid0(SALU_CYCLE_1) | instskip(NEXT) | instid1(SALU_CYCLE_1)
	s_add_co_i32 s5, s5, s6
	s_mul_hi_u32 s4, s8, s5
	s_xor_b32 s5, s23, s29
	s_mul_i32 s6, s4, s3
	s_ashr_i32 s25, s5, 31
	s_sub_co_i32 s5, s8, s6
	s_add_co_i32 s6, s4, 1
	s_sub_co_i32 s7, s5, s3
	s_cmp_ge_u32 s5, s3
	s_cselect_b32 s4, s6, s4
	s_cselect_b32 s5, s7, s5
	s_add_co_i32 s6, s4, 1
	s_cmp_ge_u32 s5, s3
	s_cselect_b32 s3, s6, s4
	s_load_b512 s[4:19], s[0:1], 0x0
	s_xor_b32 s3, s3, s25
	s_delay_alu instid0(SALU_CYCLE_1) | instskip(NEXT) | instid1(SALU_CYCLE_1)
	s_sub_co_i32 s3, s3, s25
	s_abs_i32 s38, s3
	s_delay_alu instid0(SALU_CYCLE_1) | instskip(NEXT) | instid1(SALU_CYCLE_3)
	s_cvt_f32_u32 s25, s38
	v_rcp_iflag_f32_e32 v1, s25
	v_nop
	s_delay_alu instid0(TRANS32_DEP_1)
	v_readfirstlane_b32 s25, v1
	s_wait_kmcnt 0x0
	s_cmp_eq_u64 s[10:11], 0
	s_cbranch_scc1 .LBB5_2
; %bb.1:
	s_abs_i32 s29, s36
	s_abs_i32 s30, s2
	s_cvt_f32_u32 s26, s29
	s_sub_co_i32 s27, 0, s29
	s_delay_alu instid0(SALU_CYCLE_2) | instskip(SKIP_1) | instid1(TRANS32_DEP_1)
	v_rcp_iflag_f32_e32 v1, s26
	v_nop
	v_readfirstlane_b32 s26, v1
	s_mul_f32 s26, s26, 0x4f7ffffe
	s_delay_alu instid0(SALU_CYCLE_3) | instskip(NEXT) | instid1(SALU_CYCLE_3)
	s_cvt_u32_f32 s26, s26
	s_mul_i32 s27, s27, s26
	s_delay_alu instid0(SALU_CYCLE_1) | instskip(NEXT) | instid1(SALU_CYCLE_1)
	s_mul_hi_u32 s27, s26, s27
	s_add_co_i32 s26, s26, s27
	s_delay_alu instid0(SALU_CYCLE_1) | instskip(SKIP_2) | instid1(SALU_CYCLE_1)
	s_mul_hi_u32 s31, s30, s26
	s_load_b64 s[26:27], s[0:1], 0xc8
	s_mul_i32 s31, s31, s29
	s_sub_co_i32 s30, s30, s31
	s_ashr_i32 s31, s2, 31
	s_sub_co_i32 s34, s30, s29
	s_cmp_ge_u32 s30, s29
	s_cselect_b32 s30, s34, s30
	s_delay_alu instid0(SALU_CYCLE_1) | instskip(SKIP_2) | instid1(SALU_CYCLE_1)
	s_sub_co_i32 s34, s30, s29
	s_cmp_ge_u32 s30, s29
	s_cselect_b32 s29, s34, s30
	s_xor_b32 s29, s29, s31
	s_delay_alu instid0(SALU_CYCLE_1) | instskip(NEXT) | instid1(SALU_CYCLE_1)
	s_sub_co_i32 s30, s29, s31
	s_ashr_i32 s31, s30, 31
	s_wait_kmcnt 0x0
	s_mul_u64 s[26:27], s[26:27], s[30:31]
	s_delay_alu instid0(SALU_CYCLE_1)
	s_add_nc_u64 s[30:31], s[10:11], s[26:27]
.LBB5_2:
	s_bfe_u32 s10, ttmp6, 0x4000c
	v_dual_lshrrev_b32 v1, 10, v0 :: v_dual_mov_b32 v3, 0
	s_add_co_i32 s10, s10, 1
	s_and_b32 s11, ttmp6, 15
	s_mul_i32 s10, ttmp9, s10
	s_delay_alu instid0(VALU_DEP_1)
	v_bfe_u32 v1, v1, 3, 7
	s_add_co_i32 s11, s11, s10
	s_cmp_eq_u32 s24, 0
	v_bfe_u32 v8, v0, 10, 10
	s_cselect_b32 s26, ttmp9, s11
	s_load_b96 s[40:42], s[0:1], 0x70
	v_dual_mov_b32 v33, v3 :: v_dual_add_nc_u32 v66, s26, v1
	s_delay_alu instid0(VALU_DEP_2) | instskip(SKIP_1) | instid1(VALU_DEP_3)
	v_lshlrev_b32_e32 v9, 2, v8
	v_mul_u32_u24_e32 v69, 0xa00, v8
	v_mul_hi_u32 v1, s20, v66
	s_delay_alu instid0(VALU_DEP_3) | instskip(NEXT) | instid1(VALU_DEP_2)
	v_and_b32_e32 v32, 28, v9
	v_add_nc_u32_e32 v1, v66, v1
	s_wait_kmcnt 0x0
	s_mul_i32 s20, s33, s41
	s_ashr_i32 s11, s41, 31
	s_delay_alu instid0(VALU_DEP_1)
	v_lshrrev_b32_e32 v1, s21, v1
	s_mov_b32 s10, s41
	s_ashr_i32 s41, s40, 31
	s_lshr_b64 s[10:11], s[10:11], 2
	s_lshr_b64 s[40:41], s[40:41], 2
	v_mul_lo_u32 v1, v1, s22
	s_ashr_i32 s21, s20, 31
	s_delay_alu instid0(VALU_DEP_1) | instskip(SKIP_2) | instid1(VALU_DEP_3)
	v_dual_mov_b32 v1, v3 :: v_dual_sub_nc_u32 v2, v66, v1
	v_mul_u64_e32 v[6:7], s[10:11], v[32:33]
	v_and_b32_e32 v33, 0x3ff, v0
	v_mul_u64_e32 v[4:5], s[40:41], v[2:3]
	s_mul_i32 s40, s2, s42
	s_delay_alu instid0(SALU_CYCLE_1) | instskip(NEXT) | instid1(VALU_DEP_2)
	s_ashr_i32 s41, s40, 31
	v_dual_lshlrev_b32 v0, 4, v33 :: v_dual_lshlrev_b32 v68, 3, v33
	s_add_nc_u64 s[4:5], s[4:5], s[40:41]
	v_cmp_gt_u32_e32 vcc_lo, 16, v33
	s_add_nc_u64 s[4:5], s[4:5], s[20:21]
	s_delay_alu instid0(VALU_DEP_3) | instid1(SALU_CYCLE_1)
	v_lshl_add_u64 v[4:5], v[4:5], 2, s[4:5]
	s_load_b32 s4, s[0:1], 0x40
	s_delay_alu instid0(VALU_DEP_1) | instskip(NEXT) | instid1(VALU_DEP_1)
	v_add_nc_u64_e32 v[0:1], v[4:5], v[0:1]
	v_lshl_add_u64 v[4:5], v[6:7], 2, v[0:1]
	s_clause 0x1
	global_load_b128 v[10:13], v[4:5], off
	global_load_b128 v[14:17], v[4:5], off offset:512
	s_wait_loadcnt 0x1
	s_wait_kmcnt 0x0
	v_fma_mixlo_f16 v6, s4, v10, 0
	v_fma_mixlo_f16 v7, s4, v11, 0
	;; [unrolled: 1-line block ×4, first 2 shown]
	s_wait_loadcnt 0x0
	v_fma_mixlo_f16 v12, s4, v14, 0
	v_fma_mixlo_f16 v13, s4, v15, 0
	;; [unrolled: 1-line block ×4, first 2 shown]
	v_lshlrev_b32_e32 v7, 16, v7
	v_and_b32_e32 v6, 0xffff, v6
	v_lshlrev_b32_e32 v13, 16, v13
	v_and_b32_e32 v12, 0xffff, v12
	;; [unrolled: 2-line block ×4, first 2 shown]
	v_or_b32_e32 v6, v7, v6
	v_or_b32_e32 v12, v13, v12
	v_mad_u32_u24 v13, 0xa00, v8, v68
	v_or3_b32 v7, v11, v10, 0
	v_or3_b32 v11, v15, v14, 0
	;; [unrolled: 1-line block ×4, first 2 shown]
	ds_store_2addr_b64 v13, v[6:7], v[10:11] offset1:32
	s_and_saveexec_b32 s5, vcc_lo
	s_cbranch_execz .LBB5_4
; %bb.3:
	global_load_b128 v[4:7], v[4:5], off offset:1024
	s_wait_loadcnt 0x0
	v_fma_mixlo_f16 v10, s4, v4, 0
	v_mov_b32_e32 v4, v7
	s_delay_alu instid0(VALU_DEP_1) | instskip(NEXT) | instid1(VALU_DEP_1)
	v_pk_mul_f32 v[4:5], s[4:5], v[4:5] op_sel_hi:[0,1]
	v_cvt_pk_f16_f32 v4, v4, v5
	v_fma_mixlo_f16 v5, s4, v6, 0
	v_and_b32_e32 v6, 0xffff, v10
	s_delay_alu instid0(VALU_DEP_3) | instskip(NEXT) | instid1(VALU_DEP_3)
	v_and_b32_e32 v7, 0xffff0000, v4
	v_and_b32_e32 v5, 0xffff, v5
	s_delay_alu instid0(VALU_DEP_2) | instskip(NEXT) | instid1(VALU_DEP_1)
	v_dual_lshlrev_b32 v4, 16, v4 :: v_dual_bitop2_b32 v6, v7, v6 bitop3:0x54
	v_or3_b32 v5, v4, v5, 0
	s_delay_alu instid0(VALU_DEP_2)
	v_or3_b32 v4, 0, 0, v6
	v_add_nc_u32_e32 v6, v68, v69
	ds_store_b64 v6, v[4:5] offset:512
.LBB5_4:
	s_or_b32 exec_lo, exec_lo, s5
	v_bitop3_b32 v4, v9, 29, 1 bitop3:0xc8
	v_dual_mov_b32 v5, v3 :: v_dual_bitop2_b32 v3, 1, v9 bitop3:0x54
	s_delay_alu instid0(VALU_DEP_1) | instskip(NEXT) | instid1(VALU_DEP_2)
	v_mul_u64_e32 v[4:5], s[10:11], v[4:5]
	v_mul_u32_u24_e32 v18, 0x280, v3
	s_delay_alu instid0(VALU_DEP_2)
	v_lshl_add_u64 v[4:5], v[4:5], 2, v[0:1]
	s_clause 0x1
	global_load_b128 v[10:13], v[4:5], off
	global_load_b128 v[14:17], v[4:5], off offset:512
	s_wait_loadcnt 0x1
	v_fma_mixlo_f16 v6, s4, v10, 0
	v_fma_mixlo_f16 v7, s4, v11, 0
	;; [unrolled: 1-line block ×4, first 2 shown]
	s_wait_loadcnt 0x0
	v_fma_mixlo_f16 v12, s4, v14, 0
	v_fma_mixlo_f16 v13, s4, v15, 0
	;; [unrolled: 1-line block ×4, first 2 shown]
	v_lshlrev_b32_e32 v7, 16, v7
	v_and_b32_e32 v6, 0xffff, v6
	v_lshlrev_b32_e32 v13, 16, v13
	v_and_b32_e32 v12, 0xffff, v12
	;; [unrolled: 2-line block ×4, first 2 shown]
	v_or_b32_e32 v6, v7, v6
	v_or_b32_e32 v12, v13, v12
	v_mad_u32_u24 v13, 0x280, v3, v68
	v_or3_b32 v7, v11, v10, 0
	v_or3_b32 v11, v15, v14, 0
	;; [unrolled: 1-line block ×4, first 2 shown]
	v_add_nc_u32_e32 v3, v68, v18
	ds_store_2addr_b64 v13, v[6:7], v[10:11] offset1:32
	s_and_saveexec_b32 s5, vcc_lo
	s_cbranch_execz .LBB5_6
; %bb.5:
	global_load_b128 v[4:7], v[4:5], off offset:1024
	s_wait_loadcnt 0x0
	v_fma_mixlo_f16 v10, s4, v4, 0
	v_mov_b32_e32 v4, v7
	s_delay_alu instid0(VALU_DEP_1) | instskip(NEXT) | instid1(VALU_DEP_1)
	v_pk_mul_f32 v[4:5], s[4:5], v[4:5] op_sel_hi:[0,1]
	v_cvt_pk_f16_f32 v4, v4, v5
	v_fma_mixlo_f16 v5, s4, v6, 0
	v_and_b32_e32 v6, 0xffff, v10
	s_delay_alu instid0(VALU_DEP_3) | instskip(NEXT) | instid1(VALU_DEP_3)
	v_and_b32_e32 v7, 0xffff0000, v4
	v_and_b32_e32 v5, 0xffff, v5
	s_delay_alu instid0(VALU_DEP_2) | instskip(NEXT) | instid1(VALU_DEP_1)
	v_dual_lshlrev_b32 v4, 16, v4 :: v_dual_bitop2_b32 v6, v7, v6 bitop3:0x54
	v_or3_b32 v5, v4, v5, 0
	s_delay_alu instid0(VALU_DEP_2)
	v_or3_b32 v4, 0, 0, v6
	ds_store_b64 v3, v[4:5] offset:512
.LBB5_6:
	s_or_b32 exec_lo, exec_lo, s5
	v_bitop3_b32 v4, v9, 30, 2 bitop3:0xc8
	v_mov_b32_e32 v5, 0
	s_delay_alu instid0(VALU_DEP_1) | instskip(NEXT) | instid1(VALU_DEP_1)
	v_mul_u64_e32 v[6:7], s[10:11], v[4:5]
	v_lshl_add_u64 v[6:7], v[6:7], 2, v[0:1]
	s_clause 0x1
	global_load_b128 v[10:13], v[6:7], off
	global_load_b128 v[14:17], v[6:7], off offset:512
	s_wait_loadcnt 0x1
	v_fma_mixlo_f16 v4, s4, v10, 0
	v_fma_mixlo_f16 v10, s4, v11, 0
	;; [unrolled: 1-line block ×4, first 2 shown]
	s_wait_loadcnt 0x0
	v_fma_mixlo_f16 v13, s4, v14, 0
	v_fma_mixlo_f16 v14, s4, v15, 0
	v_fma_mixlo_f16 v15, s4, v16, 0
	v_fma_mixlo_f16 v16, s4, v17, 0
	v_lshlrev_b32_e32 v10, 16, v10
	v_and_b32_e32 v4, 0xffff, v4
	v_dual_lshlrev_b32 v12, 16, v12 :: v_dual_lshlrev_b32 v14, 16, v14
	v_and_b32_e32 v13, 0xffff, v13
	v_and_b32_e32 v11, 0xffff, v11
	v_lshlrev_b32_e32 v16, 16, v16
	v_and_b32_e32 v15, 0xffff, v15
	v_or_b32_e32 v4, v10, v4
	v_or_b32_e32 v14, v14, v13
	v_or3_b32 v11, v12, v11, 0
	s_delay_alu instid0(VALU_DEP_4) | instskip(NEXT) | instid1(VALU_DEP_4)
	v_or3_b32 v13, v16, v15, 0
	v_or3_b32 v10, 0, 0, v4
	s_delay_alu instid0(VALU_DEP_4)
	v_or3_b32 v12, 0, 0, v14
	ds_store_2addr_b64 v3, v[10:11], v[12:13] offset0:80 offset1:112
	s_and_saveexec_b32 s5, vcc_lo
	s_cbranch_execz .LBB5_8
; %bb.7:
	global_load_b128 v[10:13], v[6:7], off offset:1024
	s_wait_loadcnt 0x0
	v_fma_mixlo_f16 v4, s4, v10, 0
	v_mov_b32_e32 v10, v13
	s_delay_alu instid0(VALU_DEP_2) | instskip(NEXT) | instid1(VALU_DEP_2)
	v_and_b32_e32 v4, 0xffff, v4
	v_pk_mul_f32 v[6:7], s[4:5], v[10:11] op_sel_hi:[0,1]
	s_delay_alu instid0(VALU_DEP_1) | instskip(SKIP_1) | instid1(VALU_DEP_2)
	v_cvt_pk_f16_f32 v6, v6, v7
	v_fma_mixlo_f16 v7, s4, v12, 0
	v_and_b32_e32 v10, 0xffff0000, v6
	s_delay_alu instid0(VALU_DEP_2) | instskip(NEXT) | instid1(VALU_DEP_2)
	v_and_b32_e32 v7, 0xffff, v7
	v_dual_lshlrev_b32 v6, 16, v6 :: v_dual_bitop2_b32 v4, v10, v4 bitop3:0x54
	s_delay_alu instid0(VALU_DEP_1) | instskip(NEXT) | instid1(VALU_DEP_2)
	v_or3_b32 v7, v6, v7, 0
	v_or3_b32 v6, 0, 0, v4
	ds_store_b64 v3, v[6:7] offset:1152
.LBB5_8:
	s_or_b32 exec_lo, exec_lo, s5
	v_bitop3_b32 v4, v9, 31, 3 bitop3:0xc8
	s_delay_alu instid0(VALU_DEP_1) | instskip(NEXT) | instid1(VALU_DEP_1)
	v_mul_u64_e32 v[4:5], s[10:11], v[4:5]
	v_lshl_add_u64 v[0:1], v[4:5], 2, v[0:1]
	s_clause 0x1
	global_load_b128 v[4:7], v[0:1], off
	global_load_b128 v[10:13], v[0:1], off offset:512
	s_wait_loadcnt 0x1
	v_fma_mixlo_f16 v4, s4, v4, 0
	v_fma_mixlo_f16 v5, s4, v5, 0
	s_wait_loadcnt 0x0
	v_fma_mixlo_f16 v10, s4, v10, 0
	v_fma_mixlo_f16 v11, s4, v11, 0
	;; [unrolled: 1-line block ×6, first 2 shown]
	v_lshlrev_b32_e32 v5, 16, v5
	v_and_b32_e32 v4, 0xffff, v4
	v_lshlrev_b32_e32 v11, 16, v11
	v_and_b32_e32 v10, 0xffff, v10
	;; [unrolled: 2-line block ×4, first 2 shown]
	v_or_b32_e32 v4, v5, v4
	v_or_b32_e32 v10, v11, v10
	v_or3_b32 v5, v7, v6, 0
	s_delay_alu instid0(VALU_DEP_4) | instskip(NEXT) | instid1(VALU_DEP_4)
	v_or3_b32 v7, v13, v12, 0
	v_or3_b32 v4, 0, 0, v4
	s_delay_alu instid0(VALU_DEP_4)
	v_or3_b32 v6, 0, 0, v10
	ds_store_2addr_b64 v3, v[4:5], v[6:7] offset0:160 offset1:192
	s_and_saveexec_b32 s5, vcc_lo
	s_cbranch_execz .LBB5_10
; %bb.9:
	global_load_b128 v[4:7], v[0:1], off offset:1024
	s_wait_loadcnt 0x0
	v_fma_mixlo_f16 v10, s4, v4, 0
	v_mov_b32_e32 v4, v7
	s_delay_alu instid0(VALU_DEP_1) | instskip(NEXT) | instid1(VALU_DEP_3)
	v_pk_mul_f32 v[0:1], s[4:5], v[4:5] op_sel_hi:[0,1]
	v_and_b32_e32 v4, 0xffff, v10
	s_delay_alu instid0(VALU_DEP_2) | instskip(SKIP_1) | instid1(VALU_DEP_2)
	v_cvt_pk_f16_f32 v0, v0, v1
	v_fma_mixlo_f16 v1, s4, v6, 0
	v_and_b32_e32 v5, 0xffff0000, v0
	s_delay_alu instid0(VALU_DEP_2) | instskip(SKIP_1) | instid1(VALU_DEP_3)
	v_and_b32_e32 v1, 0xffff, v1
	v_lshlrev_b32_e32 v0, 16, v0
	v_or_b32_e32 v4, v5, v4
	s_delay_alu instid0(VALU_DEP_2) | instskip(NEXT) | instid1(VALU_DEP_2)
	v_or3_b32 v1, v0, v1, 0
	v_or3_b32 v0, 0, 0, v4
	ds_store_b64 v3, v[0:1] offset:1792
.LBB5_10:
	s_or_b32 exec_lo, exec_lo, s5
	s_cmp_eq_u64 s[14:15], 0
	s_wait_dscnt 0x0
	s_barrier_signal -1
	s_barrier_wait -1
	s_cbranch_scc1 .LBB5_12
; %bb.11:
	s_load_b32 s4, s[0:1], 0xd0
	s_wait_kmcnt 0x0
	s_mul_i32 s4, s4, s2
	s_delay_alu instid0(SALU_CYCLE_1)
	s_add_co_i32 s4, s4, s26
	s_load_b32 s28, s[14:15], s4 offset:0x0 scale_offset
.LBB5_12:
	s_wait_xcnt 0x0
	s_bfe_u32 s4, ttmp6, 0x40010
	s_and_b32 s5, ttmp7, 0xffff
	s_add_co_i32 s4, s4, 1
	s_bfe_u32 s10, ttmp6, 0x40004
	s_mul_i32 s4, s5, s4
	v_lshlrev_b32_e32 v67, 2, v33
	s_add_co_i32 s10, s10, s4
	s_cmp_eq_u32 s24, 0
	v_mbcnt_lo_u32_b32 v70, -1, 0
	s_cselect_b32 s29, s5, s10
	s_mov_b32 s5, 0
	s_lshl_b32 s4, s29, 7
	s_wait_kmcnt 0x0
	s_cmp_lt_i32 s4, s28
	s_cbranch_scc1 .LBB5_15
; %bb.13:
	v_mbcnt_lo_u32_b32 v4, -1, 0
	s_delay_alu instid0(VALU_DEP_1)
	v_dual_mov_b32 v71, 32 :: v_dual_bitop2_b32 v99, 16, v4 bitop3:0x14
	v_xor_b32_e32 v98, 8, v4
	v_xor_b32_e32 v97, 4, v4
	;; [unrolled: 1-line block ×4, first 2 shown]
	s_and_not1_b32 vcc_lo, exec_lo, s5
	s_cbranch_vccz .LBB5_16
; %bb.14:
	v_dual_mov_b32 v91, 0 :: v_dual_mov_b32 v35, 0
	v_dual_mov_b32 v3, 0xfeffffff :: v_dual_mov_b32 v2, 0xfeffffff
	;; [unrolled: 1-line block ×3, first 2 shown]
	s_delay_alu instid0(VALU_DEP_3)
	v_dual_mov_b32 v34, v35 :: v_dual_mov_b32 v37, v35
	v_dual_mov_b32 v36, v35 :: v_dual_mov_b32 v59, 0
	;; [unrolled: 1-line block ×9, first 2 shown]
	s_branch .LBB5_84
.LBB5_15:
                                        ; implicit-def: $vgpr4
                                        ; implicit-def: $vgpr71
                                        ; implicit-def: $vgpr99
                                        ; implicit-def: $vgpr98
                                        ; implicit-def: $vgpr97
                                        ; implicit-def: $vgpr96
                                        ; implicit-def: $vgpr95
.LBB5_16:
	s_mul_f32 s5, s25, 0x4f7ffffe
	s_clause 0x1
	s_load_b128 s[24:27], s[0:1], 0x98
	s_load_b64 s[14:15], s[0:1], 0x8c
	s_sub_co_i32 s10, 0, s38
	s_load_b64 s[20:21], s[0:1], 0xa8
	s_cvt_u32_f32 s5, s5
	s_ashr_i32 s39, s3, 31
	s_abs_i32 s34, s33
	s_mov_b32 s11, s35
	s_mul_i32 s10, s10, s5
	s_ashr_i32 s36, s33, 31
	s_mul_hi_u32 s3, s5, s10
	s_ashr_i32 s37, s37, 1
	s_add_co_i32 s10, s5, s3
	s_ashr_i32 s3, s2, 31
	s_mul_u64 s[10:11], s[34:35], s[10:11]
	s_xor_b32 s35, s36, s39
	s_mul_i32 s5, s11, s38
	v_mad_u32 v77, v2, s37, v33
	s_sub_co_i32 s5, s34, s5
	v_lshl_add_u32 v78, v8, 10, 0x9800
	s_wait_kmcnt 0x0
	s_ashr_i32 s10, s26, 2
	s_ashr_i32 s14, s14, 2
	s_add_co_i32 s26, s11, 1
	s_sub_co_i32 s34, s5, s38
	s_cmp_ge_u32 s5, s38
	s_mul_u64 s[24:25], s[24:25], s[2:3]
	s_cselect_b32 s11, s26, s11
	s_cselect_b32 s5, s34, s5
	s_add_co_i32 s26, s11, 1
	s_cmp_ge_u32 s5, s38
	v_mul_lo_u32 v4, s10, v8
	s_cselect_b32 s5, s26, s11
	s_load_b32 s26, s[0:1], 0x54
	s_mul_u64 s[20:21], s[20:21], s[2:3]
	s_lshl_b32 s3, s14, 5
	v_lshrrev_b32_e32 v0, 3, v33
	s_xor_b32 s5, s5, s35
	s_add_nc_u64 s[6:7], s[6:7], s[24:25]
	v_mov_b32_e32 v43, 0
	s_sub_co_i32 s5, s5, s35
	v_dual_add_nc_u32 v1, v0, v9 :: v_dual_bitop2_b32 v0, 28, v67 bitop3:0x40
	s_mul_i32 s24, s5, s15
	s_mul_i32 s34, s5, s27
	s_movk_i32 s5, 0x5000
	s_delay_alu instid0(VALU_DEP_1) | instskip(SKIP_4) | instid1(VALU_DEP_4)
	v_mul_lo_u32 v38, s14, v1
	v_lshlrev_b32_e32 v3, 2, v0
	v_mad_u32_u24 v76, 0x90, v33, s5
	v_dual_mov_b32 v93, 0xfeffffff :: v_dual_lshlrev_b32 v48, 2, v0
	v_mov_b32_e32 v49, v43
	v_mad_u32_u24 v1, 0x90, v1, v3
	v_dual_mov_b32 v71, 32 :: v_dual_mov_b32 v84, v43
	v_dual_lshlrev_b32 v42, 2, v67 :: v_dual_mov_b32 v86, v43
	s_delay_alu instid0(VALU_DEP_3) | instskip(SKIP_4) | instid1(VALU_DEP_4)
	v_add_nc_u32_e32 v75, 0x8600, v1
	v_dual_add_nc_u32 v40, s3, v38 :: v_dual_ashrrev_i32 v39, 31, v38
	v_add_nc_u32_e32 v72, 0x5000, v1
	v_add_nc_u32_e32 v73, 0x6200, v1
	;; [unrolled: 1-line block ×3, first 2 shown]
	v_dual_add_nc_u32 v44, s3, v40 :: v_dual_ashrrev_i32 v41, 31, v40
	v_lshl_add_u32 v1, v8, 9, v42
	v_dual_mov_b32 v83, v43 :: v_dual_ashrrev_i32 v5, 31, v4
	s_delay_alu instid0(VALU_DEP_3) | instskip(SKIP_1) | instid1(VALU_DEP_3)
	v_dual_ashrrev_i32 v45, 31, v44 :: v_dual_add_nc_u32 v46, s3, v44
	s_lshl_b32 s3, s10, 3
	v_dual_mov_b32 v64, v43 :: v_dual_add_nc_u32 v79, 0x5000, v1
	s_delay_alu instid0(VALU_DEP_2) | instskip(SKIP_3) | instid1(VALU_DEP_4)
	v_dual_add_nc_u32 v6, s3, v4 :: v_dual_ashrrev_i32 v47, 31, v46
	v_lshlrev_b64_e32 v[50:51], 2, v[4:5]
	v_add_nc_u32_e32 v80, 0x6000, v1
	v_dual_mov_b32 v62, v43 :: v_dual_add_nc_u32 v81, 0x7000, v1
	v_add_nc_u32_e32 v2, s3, v6
	v_dual_mov_b32 v85, v43 :: v_dual_add_nc_u32 v82, 0x8000, v1
	v_dual_mov_b32 v63, v43 :: v_dual_mov_b32 v87, v43
	s_delay_alu instid0(VALU_DEP_3) | instskip(SKIP_1) | instid1(VALU_DEP_2)
	v_dual_add_nc_u32 v8, s3, v2 :: v_dual_ashrrev_i32 v3, 31, v2
	v_dual_ashrrev_i32 v7, 31, v6 :: v_dual_mov_b32 v89, v43
	v_dual_mov_b32 v65, v43 :: v_dual_ashrrev_i32 v9, 31, v8
	s_delay_alu instid0(VALU_DEP_3) | instskip(NEXT) | instid1(VALU_DEP_3)
	v_lshlrev_b64_e32 v[54:55], 2, v[2:3]
	v_lshlrev_b64_e32 v[52:53], 2, v[6:7]
	v_dual_mov_b32 v90, v43 :: v_dual_mov_b32 v88, v43
	s_delay_alu instid0(VALU_DEP_4)
	v_lshlrev_b64_e32 v[56:57], 2, v[8:9]
	v_dual_mov_b32 v92, v43 :: v_dual_mov_b32 v58, v43
	v_dual_mov_b32 v59, v43 :: v_dual_mov_b32 v91, v43
	;; [unrolled: 1-line block ×5, first 2 shown]
	v_mov_b32_e32 v35, v43
	s_ashr_i32 s25, s24, 31
	s_add_nc_u64 s[8:9], s[8:9], s[20:21]
	s_ashr_i32 s35, s34, 31
	s_add_nc_u64 s[6:7], s[6:7], s[24:25]
	s_add_nc_u64 s[8:9], s[8:9], s[34:35]
	s_ashr_i32 s15, s14, 31
	s_ashr_i32 s11, s10, 31
	s_add_nc_u64 s[20:21], s[0:1], 0xd0
	s_mov_b32 s3, 0xbbbac73d
.LBB5_17:                               ; =>This Inner Loop Header: Depth=1
	s_ashr_i32 s5, s4, 31
	v_dual_mov_b32 v95, 0 :: v_dual_mov_b32 v103, 0
	s_mul_u64 s[24:25], s[4:5], s[14:15]
	v_dual_mov_b32 v100, 0 :: v_dual_mov_b32 v107, 0
	s_lshl_b64 s[24:25], s[24:25], 2
	v_dual_mov_b32 v96, 0 :: v_dual_mov_b32 v104, 0
	s_add_nc_u64 s[24:25], s[6:7], s[24:25]
	v_dual_mov_b32 v101, 0 :: v_dual_mov_b32 v108, 0
	v_lshl_add_u64 v[0:1], v[38:39], 2, s[24:25]
	v_lshl_add_u64 v[2:3], v[40:41], 2, s[24:25]
	;; [unrolled: 1-line block ×4, first 2 shown]
	v_dual_mov_b32 v97, 0 :: v_dual_mov_b32 v105, 0
	v_add_nc_u64_e32 v[0:1], v[0:1], v[48:49]
	v_add_nc_u64_e32 v[2:3], v[2:3], v[48:49]
	;; [unrolled: 1-line block ×4, first 2 shown]
	s_clause 0x3
	global_load_b128 v[8:11], v[0:1], off
	global_load_b128 v[12:15], v[2:3], off
	;; [unrolled: 1-line block ×4, first 2 shown]
	v_dual_mov_b32 v102, 0 :: v_dual_mov_b32 v109, 0
	v_dual_mov_b32 v98, 0 :: v_dual_mov_b32 v106, 0
	;; [unrolled: 1-line block ×3, first 2 shown]
	s_wait_loadcnt 0x3
	ds_store_b128 v72, v[8:11]
	s_wait_loadcnt 0x2
	ds_store_b128 v73, v[12:15]
	;; [unrolled: 2-line block ×4, first 2 shown]
	s_wait_dscnt 0x0
	s_barrier_signal -1
	s_barrier_wait -1
	ds_load_b128 v[8:11], v76
	ds_load_b128 v[12:15], v69
	ds_load_b128 v[16:19], v69 offset:640
	ds_load_b128 v[20:23], v69 offset:1280
	;; [unrolled: 1-line block ×6, first 2 shown]
	s_wait_dscnt 0x6
	;;#ASMSTART
	v_dot2_f32_f16 v95, v8, v12, v95
	;;#ASMEND
	;;#ASMSTART
	v_dot2_f32_f16 v95, v9, v13, v95
	;;#ASMEND
	;;#ASMSTART
	v_dot2_f32_f16 v95, v10, v14, v95
	;;#ASMEND
	;;#ASMSTART
	v_dot2_f32_f16 v95, v11, v15, v95
	;;#ASMEND
	s_wait_dscnt 0x5
	;;#ASMSTART
	v_dot2_f32_f16 v103, v8, v16, v103
	;;#ASMEND
	;;#ASMSTART
	v_dot2_f32_f16 v103, v9, v17, v103
	;;#ASMEND
	;;#ASMSTART
	v_dot2_f32_f16 v103, v10, v18, v103
	;;#ASMEND
	;;#ASMSTART
	v_dot2_f32_f16 v103, v11, v19, v103
	;;#ASMEND
	;; [unrolled: 13-line block ×5, first 2 shown]
	;;#ASMSTART
	v_dot2_f32_f16 v104, v28, v16, v104
	;;#ASMEND
	;;#ASMSTART
	v_dot2_f32_f16 v104, v29, v17, v104
	;;#ASMEND
	;; [unrolled: 3-line block ×12, first 2 shown]
	s_wait_dscnt 0x1
	;;#ASMSTART
	v_dot2_f32_f16 v97, v112, v12, v97
	;;#ASMEND
	;;#ASMSTART
	v_dot2_f32_f16 v97, v113, v13, v97
	;;#ASMEND
	;;#ASMSTART
	v_dot2_f32_f16 v97, v114, v14, v97
	;;#ASMEND
	;;#ASMSTART
	v_dot2_f32_f16 v97, v115, v15, v97
	;;#ASMEND
	;;#ASMSTART
	v_dot2_f32_f16 v105, v112, v16, v105
	;;#ASMEND
	;;#ASMSTART
	v_dot2_f32_f16 v105, v113, v17, v105
	;;#ASMEND
	;;#ASMSTART
	v_dot2_f32_f16 v105, v114, v18, v105
	;;#ASMEND
	;;#ASMSTART
	v_dot2_f32_f16 v105, v115, v19, v105
	;;#ASMEND
	;;#ASMSTART
	v_dot2_f32_f16 v102, v112, v20, v102
	;;#ASMEND
	;;#ASMSTART
	v_dot2_f32_f16 v102, v113, v21, v102
	;;#ASMEND
	;;#ASMSTART
	v_dot2_f32_f16 v102, v114, v22, v102
	;;#ASMEND
	;;#ASMSTART
	v_dot2_f32_f16 v102, v115, v23, v102
	;;#ASMEND
	;;#ASMSTART
	v_dot2_f32_f16 v109, v112, v24, v109
	;;#ASMEND
	;;#ASMSTART
	v_dot2_f32_f16 v109, v113, v25, v109
	;;#ASMEND
	;;#ASMSTART
	v_dot2_f32_f16 v109, v114, v26, v109
	;;#ASMEND
	;;#ASMSTART
	v_dot2_f32_f16 v109, v115, v27, v109
	;;#ASMEND
	s_wait_dscnt 0x0
	;;#ASMSTART
	v_dot2_f32_f16 v98, v116, v12, v98
	;;#ASMEND
	;;#ASMSTART
	v_dot2_f32_f16 v98, v117, v13, v98
	;;#ASMEND
	;; [unrolled: 3-line block ×16, first 2 shown]
	ds_load_b128 v[8:11], v76 offset:16
	ds_load_b128 v[12:15], v69 offset:16
	;; [unrolled: 1-line block ×8, first 2 shown]
	s_wait_dscnt 0x6
	;;#ASMSTART
	v_dot2_f32_f16 v95, v8, v12, v95
	;;#ASMEND
	;;#ASMSTART
	v_dot2_f32_f16 v95, v9, v13, v95
	;;#ASMEND
	;;#ASMSTART
	v_dot2_f32_f16 v95, v10, v14, v95
	;;#ASMEND
	;;#ASMSTART
	v_dot2_f32_f16 v95, v11, v15, v95
	;;#ASMEND
	s_wait_dscnt 0x5
	;;#ASMSTART
	v_dot2_f32_f16 v103, v8, v16, v103
	;;#ASMEND
	;;#ASMSTART
	v_dot2_f32_f16 v103, v9, v17, v103
	;;#ASMEND
	;;#ASMSTART
	v_dot2_f32_f16 v103, v10, v18, v103
	;;#ASMEND
	;;#ASMSTART
	v_dot2_f32_f16 v103, v11, v19, v103
	;;#ASMEND
	;; [unrolled: 13-line block ×5, first 2 shown]
	;;#ASMSTART
	v_dot2_f32_f16 v104, v28, v16, v104
	;;#ASMEND
	;;#ASMSTART
	v_dot2_f32_f16 v104, v29, v17, v104
	;;#ASMEND
	;; [unrolled: 3-line block ×12, first 2 shown]
	s_wait_dscnt 0x1
	;;#ASMSTART
	v_dot2_f32_f16 v97, v112, v12, v97
	;;#ASMEND
	;;#ASMSTART
	v_dot2_f32_f16 v97, v113, v13, v97
	;;#ASMEND
	;; [unrolled: 3-line block ×16, first 2 shown]
	s_wait_dscnt 0x0
	;;#ASMSTART
	v_dot2_f32_f16 v98, v116, v12, v98
	;;#ASMEND
	;;#ASMSTART
	v_dot2_f32_f16 v98, v117, v13, v98
	;;#ASMEND
	;; [unrolled: 3-line block ×16, first 2 shown]
	ds_load_b128 v[8:11], v76 offset:32
	ds_load_b128 v[12:15], v69 offset:32
	;; [unrolled: 1-line block ×8, first 2 shown]
	s_wait_dscnt 0x6
	;;#ASMSTART
	v_dot2_f32_f16 v95, v8, v12, v95
	;;#ASMEND
	;;#ASMSTART
	v_dot2_f32_f16 v95, v9, v13, v95
	;;#ASMEND
	;;#ASMSTART
	v_dot2_f32_f16 v95, v10, v14, v95
	;;#ASMEND
	;;#ASMSTART
	v_dot2_f32_f16 v95, v11, v15, v95
	;;#ASMEND
	s_wait_dscnt 0x5
	;;#ASMSTART
	v_dot2_f32_f16 v103, v8, v16, v103
	;;#ASMEND
	;;#ASMSTART
	v_dot2_f32_f16 v103, v9, v17, v103
	;;#ASMEND
	;;#ASMSTART
	v_dot2_f32_f16 v103, v10, v18, v103
	;;#ASMEND
	;;#ASMSTART
	v_dot2_f32_f16 v103, v11, v19, v103
	;;#ASMEND
	;; [unrolled: 13-line block ×5, first 2 shown]
	;;#ASMSTART
	v_dot2_f32_f16 v104, v28, v16, v104
	;;#ASMEND
	;;#ASMSTART
	v_dot2_f32_f16 v104, v29, v17, v104
	;;#ASMEND
	;; [unrolled: 3-line block ×12, first 2 shown]
	s_wait_dscnt 0x1
	;;#ASMSTART
	v_dot2_f32_f16 v97, v112, v12, v97
	;;#ASMEND
	;;#ASMSTART
	v_dot2_f32_f16 v97, v113, v13, v97
	;;#ASMEND
	;; [unrolled: 3-line block ×16, first 2 shown]
	s_wait_dscnt 0x0
	;;#ASMSTART
	v_dot2_f32_f16 v98, v116, v12, v98
	;;#ASMEND
	;;#ASMSTART
	v_dot2_f32_f16 v98, v117, v13, v98
	;;#ASMEND
	;; [unrolled: 3-line block ×16, first 2 shown]
	ds_load_b128 v[8:11], v76 offset:48
	ds_load_b128 v[12:15], v69 offset:48
	;; [unrolled: 1-line block ×8, first 2 shown]
	s_wait_dscnt 0x6
	;;#ASMSTART
	v_dot2_f32_f16 v95, v8, v12, v95
	;;#ASMEND
	;;#ASMSTART
	v_dot2_f32_f16 v95, v9, v13, v95
	;;#ASMEND
	;;#ASMSTART
	v_dot2_f32_f16 v95, v10, v14, v95
	;;#ASMEND
	;;#ASMSTART
	v_dot2_f32_f16 v95, v11, v15, v95
	;;#ASMEND
	s_wait_dscnt 0x5
	;;#ASMSTART
	v_dot2_f32_f16 v103, v8, v16, v103
	;;#ASMEND
	;;#ASMSTART
	v_dot2_f32_f16 v103, v9, v17, v103
	;;#ASMEND
	;;#ASMSTART
	v_dot2_f32_f16 v103, v10, v18, v103
	;;#ASMEND
	;;#ASMSTART
	v_dot2_f32_f16 v103, v11, v19, v103
	;;#ASMEND
	;; [unrolled: 13-line block ×5, first 2 shown]
	;;#ASMSTART
	v_dot2_f32_f16 v104, v28, v16, v104
	;;#ASMEND
	;;#ASMSTART
	v_dot2_f32_f16 v104, v29, v17, v104
	;;#ASMEND
	;; [unrolled: 3-line block ×12, first 2 shown]
	s_wait_dscnt 0x1
	;;#ASMSTART
	v_dot2_f32_f16 v97, v112, v12, v97
	;;#ASMEND
	;;#ASMSTART
	v_dot2_f32_f16 v97, v113, v13, v97
	;;#ASMEND
	;; [unrolled: 3-line block ×16, first 2 shown]
	s_wait_dscnt 0x0
	;;#ASMSTART
	v_dot2_f32_f16 v98, v116, v12, v98
	;;#ASMEND
	;;#ASMSTART
	v_dot2_f32_f16 v98, v117, v13, v98
	;;#ASMEND
	;; [unrolled: 3-line block ×16, first 2 shown]
	ds_load_b128 v[8:11], v76 offset:64
	ds_load_b128 v[12:15], v69 offset:64
	;; [unrolled: 1-line block ×8, first 2 shown]
	s_wait_dscnt 0x6
	;;#ASMSTART
	v_dot2_f32_f16 v95, v8, v12, v95
	;;#ASMEND
	;;#ASMSTART
	v_dot2_f32_f16 v95, v9, v13, v95
	;;#ASMEND
	;;#ASMSTART
	v_dot2_f32_f16 v95, v10, v14, v95
	;;#ASMEND
	;;#ASMSTART
	v_dot2_f32_f16 v95, v11, v15, v95
	;;#ASMEND
	s_wait_dscnt 0x5
	;;#ASMSTART
	v_dot2_f32_f16 v103, v8, v16, v103
	;;#ASMEND
	;;#ASMSTART
	v_dot2_f32_f16 v103, v9, v17, v103
	;;#ASMEND
	;;#ASMSTART
	v_dot2_f32_f16 v103, v10, v18, v103
	;;#ASMEND
	;;#ASMSTART
	v_dot2_f32_f16 v103, v11, v19, v103
	;;#ASMEND
	s_wait_dscnt 0x4
	;;#ASMSTART
	v_dot2_f32_f16 v100, v8, v20, v100
	;;#ASMEND
	;;#ASMSTART
	v_dot2_f32_f16 v100, v9, v21, v100
	;;#ASMEND
	;;#ASMSTART
	v_dot2_f32_f16 v100, v10, v22, v100
	;;#ASMEND
	;;#ASMSTART
	v_dot2_f32_f16 v100, v11, v23, v100
	;;#ASMEND
	s_wait_dscnt 0x3
	;;#ASMSTART
	v_dot2_f32_f16 v107, v8, v24, v107
	;;#ASMEND
	;;#ASMSTART
	v_dot2_f32_f16 v107, v9, v25, v107
	;;#ASMEND
	;;#ASMSTART
	v_dot2_f32_f16 v107, v10, v26, v107
	;;#ASMEND
	;;#ASMSTART
	v_dot2_f32_f16 v107, v11, v27, v107
	;;#ASMEND
	s_wait_dscnt 0x2
	;;#ASMSTART
	v_dot2_f32_f16 v96, v28, v12, v96
	;;#ASMEND
	;;#ASMSTART
	v_dot2_f32_f16 v96, v29, v13, v96
	;;#ASMEND
	;;#ASMSTART
	v_dot2_f32_f16 v96, v30, v14, v96
	;;#ASMEND
	;;#ASMSTART
	v_dot2_f32_f16 v96, v31, v15, v96
	;;#ASMEND
	;;#ASMSTART
	v_dot2_f32_f16 v104, v28, v16, v104
	;;#ASMEND
	;;#ASMSTART
	v_dot2_f32_f16 v104, v29, v17, v104
	;;#ASMEND
	;; [unrolled: 3-line block ×12, first 2 shown]
	s_wait_dscnt 0x1
	;;#ASMSTART
	v_dot2_f32_f16 v97, v112, v12, v97
	;;#ASMEND
	;;#ASMSTART
	v_dot2_f32_f16 v97, v113, v13, v97
	;;#ASMEND
	;; [unrolled: 3-line block ×16, first 2 shown]
	s_wait_dscnt 0x0
	;;#ASMSTART
	v_dot2_f32_f16 v98, v116, v12, v98
	;;#ASMEND
	;;#ASMSTART
	v_dot2_f32_f16 v98, v117, v13, v98
	;;#ASMEND
	;; [unrolled: 3-line block ×16, first 2 shown]
	ds_load_b128 v[8:11], v76 offset:80
	ds_load_b128 v[12:15], v69 offset:80
	;; [unrolled: 1-line block ×8, first 2 shown]
	s_wait_dscnt 0x6
	;;#ASMSTART
	v_dot2_f32_f16 v95, v8, v12, v95
	;;#ASMEND
	;;#ASMSTART
	v_dot2_f32_f16 v95, v9, v13, v95
	;;#ASMEND
	;;#ASMSTART
	v_dot2_f32_f16 v95, v10, v14, v95
	;;#ASMEND
	;;#ASMSTART
	v_dot2_f32_f16 v95, v11, v15, v95
	;;#ASMEND
	s_wait_dscnt 0x5
	;;#ASMSTART
	v_dot2_f32_f16 v103, v8, v16, v103
	;;#ASMEND
	;;#ASMSTART
	v_dot2_f32_f16 v103, v9, v17, v103
	;;#ASMEND
	;;#ASMSTART
	v_dot2_f32_f16 v103, v10, v18, v103
	;;#ASMEND
	;;#ASMSTART
	v_dot2_f32_f16 v103, v11, v19, v103
	;;#ASMEND
	;; [unrolled: 13-line block ×5, first 2 shown]
	;;#ASMSTART
	v_dot2_f32_f16 v104, v28, v16, v104
	;;#ASMEND
	;;#ASMSTART
	v_dot2_f32_f16 v104, v29, v17, v104
	;;#ASMEND
	;; [unrolled: 3-line block ×12, first 2 shown]
	s_wait_dscnt 0x1
	;;#ASMSTART
	v_dot2_f32_f16 v97, v112, v12, v97
	;;#ASMEND
	;;#ASMSTART
	v_dot2_f32_f16 v97, v113, v13, v97
	;;#ASMEND
	;; [unrolled: 3-line block ×16, first 2 shown]
	s_wait_dscnt 0x0
	;;#ASMSTART
	v_dot2_f32_f16 v98, v116, v12, v98
	;;#ASMEND
	;;#ASMSTART
	v_dot2_f32_f16 v98, v117, v13, v98
	;;#ASMEND
	;; [unrolled: 3-line block ×16, first 2 shown]
	ds_load_b128 v[8:11], v76 offset:96
	ds_load_b128 v[12:15], v69 offset:96
	;; [unrolled: 1-line block ×8, first 2 shown]
	s_wait_dscnt 0x6
	;;#ASMSTART
	v_dot2_f32_f16 v95, v8, v12, v95
	;;#ASMEND
	;;#ASMSTART
	v_dot2_f32_f16 v95, v9, v13, v95
	;;#ASMEND
	;;#ASMSTART
	v_dot2_f32_f16 v95, v10, v14, v95
	;;#ASMEND
	;;#ASMSTART
	v_dot2_f32_f16 v95, v11, v15, v95
	;;#ASMEND
	s_wait_dscnt 0x5
	;;#ASMSTART
	v_dot2_f32_f16 v103, v8, v16, v103
	;;#ASMEND
	;;#ASMSTART
	v_dot2_f32_f16 v103, v9, v17, v103
	;;#ASMEND
	;;#ASMSTART
	v_dot2_f32_f16 v103, v10, v18, v103
	;;#ASMEND
	;;#ASMSTART
	v_dot2_f32_f16 v103, v11, v19, v103
	;;#ASMEND
	;; [unrolled: 13-line block ×5, first 2 shown]
	;;#ASMSTART
	v_dot2_f32_f16 v104, v28, v16, v104
	;;#ASMEND
	;;#ASMSTART
	v_dot2_f32_f16 v104, v29, v17, v104
	;;#ASMEND
	;; [unrolled: 3-line block ×12, first 2 shown]
	s_wait_dscnt 0x1
	;;#ASMSTART
	v_dot2_f32_f16 v97, v112, v12, v97
	;;#ASMEND
	;;#ASMSTART
	v_dot2_f32_f16 v97, v113, v13, v97
	;;#ASMEND
	;; [unrolled: 3-line block ×16, first 2 shown]
	s_wait_dscnt 0x0
	;;#ASMSTART
	v_dot2_f32_f16 v98, v116, v12, v98
	;;#ASMEND
	;;#ASMSTART
	v_dot2_f32_f16 v98, v117, v13, v98
	;;#ASMEND
	;; [unrolled: 3-line block ×16, first 2 shown]
	ds_load_b128 v[8:11], v76 offset:112
	ds_load_b128 v[12:15], v69 offset:112
	;; [unrolled: 1-line block ×8, first 2 shown]
	s_wait_dscnt 0x6
	;;#ASMSTART
	v_dot2_f32_f16 v95, v8, v12, v95
	;;#ASMEND
	;;#ASMSTART
	v_dot2_f32_f16 v95, v9, v13, v95
	;;#ASMEND
	;;#ASMSTART
	v_dot2_f32_f16 v95, v10, v14, v95
	;;#ASMEND
	;;#ASMSTART
	v_dot2_f32_f16 v95, v11, v15, v95
	;;#ASMEND
	s_wait_dscnt 0x5
	;;#ASMSTART
	v_dot2_f32_f16 v103, v8, v16, v103
	;;#ASMEND
	;;#ASMSTART
	v_dot2_f32_f16 v103, v9, v17, v103
	;;#ASMEND
	;;#ASMSTART
	v_dot2_f32_f16 v103, v10, v18, v103
	;;#ASMEND
	;;#ASMSTART
	v_dot2_f32_f16 v103, v11, v19, v103
	;;#ASMEND
	;; [unrolled: 13-line block ×5, first 2 shown]
	;;#ASMSTART
	v_dot2_f32_f16 v104, v28, v16, v104
	;;#ASMEND
	;;#ASMSTART
	v_dot2_f32_f16 v104, v29, v17, v104
	;;#ASMEND
	;; [unrolled: 3-line block ×12, first 2 shown]
	s_wait_dscnt 0x1
	;;#ASMSTART
	v_dot2_f32_f16 v97, v112, v12, v97
	;;#ASMEND
	;;#ASMSTART
	v_dot2_f32_f16 v97, v113, v13, v97
	;;#ASMEND
	;; [unrolled: 3-line block ×16, first 2 shown]
	s_wait_dscnt 0x0
	;;#ASMSTART
	v_dot2_f32_f16 v98, v116, v12, v98
	;;#ASMEND
	;;#ASMSTART
	v_dot2_f32_f16 v98, v117, v13, v98
	;;#ASMEND
	;; [unrolled: 3-line block ×16, first 2 shown]
	s_barrier_signal -1
	s_barrier_wait -1
	s_clause 0x3
	global_load_b128 v[8:11], v[0:1], off offset:128
	global_load_b128 v[12:15], v[2:3], off offset:128
	;; [unrolled: 1-line block ×4, first 2 shown]
	s_wait_loadcnt 0x3
	ds_store_b128 v72, v[8:11]
	s_wait_loadcnt 0x2
	ds_store_b128 v73, v[12:15]
	;; [unrolled: 2-line block ×4, first 2 shown]
	s_wait_dscnt 0x0
	s_barrier_signal -1
	s_barrier_wait -1
	ds_load_b128 v[8:11], v76
	ds_load_b128 v[12:15], v69 offset:128
	ds_load_b128 v[16:19], v69 offset:768
	;; [unrolled: 1-line block ×7, first 2 shown]
	s_wait_dscnt 0x6
	;;#ASMSTART
	v_dot2_f32_f16 v95, v8, v12, v95
	;;#ASMEND
	;;#ASMSTART
	v_dot2_f32_f16 v95, v9, v13, v95
	;;#ASMEND
	;;#ASMSTART
	v_dot2_f32_f16 v95, v10, v14, v95
	;;#ASMEND
	;;#ASMSTART
	v_dot2_f32_f16 v95, v11, v15, v95
	;;#ASMEND
	s_wait_dscnt 0x5
	;;#ASMSTART
	v_dot2_f32_f16 v103, v8, v16, v103
	;;#ASMEND
	;;#ASMSTART
	v_dot2_f32_f16 v103, v9, v17, v103
	;;#ASMEND
	;;#ASMSTART
	v_dot2_f32_f16 v103, v10, v18, v103
	;;#ASMEND
	;;#ASMSTART
	v_dot2_f32_f16 v103, v11, v19, v103
	;;#ASMEND
	;; [unrolled: 13-line block ×5, first 2 shown]
	;;#ASMSTART
	v_dot2_f32_f16 v104, v28, v16, v104
	;;#ASMEND
	;;#ASMSTART
	v_dot2_f32_f16 v104, v29, v17, v104
	;;#ASMEND
	;; [unrolled: 3-line block ×12, first 2 shown]
	s_wait_dscnt 0x1
	;;#ASMSTART
	v_dot2_f32_f16 v97, v112, v12, v97
	;;#ASMEND
	;;#ASMSTART
	v_dot2_f32_f16 v97, v113, v13, v97
	;;#ASMEND
	;; [unrolled: 3-line block ×16, first 2 shown]
	s_wait_dscnt 0x0
	;;#ASMSTART
	v_dot2_f32_f16 v98, v116, v12, v98
	;;#ASMEND
	;;#ASMSTART
	v_dot2_f32_f16 v98, v117, v13, v98
	;;#ASMEND
	;; [unrolled: 3-line block ×16, first 2 shown]
	ds_load_b128 v[8:11], v76 offset:16
	ds_load_b128 v[12:15], v69 offset:144
	;; [unrolled: 1-line block ×8, first 2 shown]
	s_wait_dscnt 0x6
	;;#ASMSTART
	v_dot2_f32_f16 v95, v8, v12, v95
	;;#ASMEND
	;;#ASMSTART
	v_dot2_f32_f16 v95, v9, v13, v95
	;;#ASMEND
	;;#ASMSTART
	v_dot2_f32_f16 v95, v10, v14, v95
	;;#ASMEND
	;;#ASMSTART
	v_dot2_f32_f16 v95, v11, v15, v95
	;;#ASMEND
	s_wait_dscnt 0x5
	;;#ASMSTART
	v_dot2_f32_f16 v103, v8, v16, v103
	;;#ASMEND
	;;#ASMSTART
	v_dot2_f32_f16 v103, v9, v17, v103
	;;#ASMEND
	;;#ASMSTART
	v_dot2_f32_f16 v103, v10, v18, v103
	;;#ASMEND
	;;#ASMSTART
	v_dot2_f32_f16 v103, v11, v19, v103
	;;#ASMEND
	;; [unrolled: 13-line block ×5, first 2 shown]
	;;#ASMSTART
	v_dot2_f32_f16 v104, v28, v16, v104
	;;#ASMEND
	;;#ASMSTART
	v_dot2_f32_f16 v104, v29, v17, v104
	;;#ASMEND
	;; [unrolled: 3-line block ×12, first 2 shown]
	s_wait_dscnt 0x1
	;;#ASMSTART
	v_dot2_f32_f16 v97, v112, v12, v97
	;;#ASMEND
	;;#ASMSTART
	v_dot2_f32_f16 v97, v113, v13, v97
	;;#ASMEND
	;; [unrolled: 3-line block ×16, first 2 shown]
	s_wait_dscnt 0x0
	;;#ASMSTART
	v_dot2_f32_f16 v98, v116, v12, v98
	;;#ASMEND
	;;#ASMSTART
	v_dot2_f32_f16 v98, v117, v13, v98
	;;#ASMEND
	;; [unrolled: 3-line block ×16, first 2 shown]
	ds_load_b128 v[8:11], v76 offset:32
	ds_load_b128 v[12:15], v69 offset:160
	;; [unrolled: 1-line block ×8, first 2 shown]
	s_wait_dscnt 0x6
	;;#ASMSTART
	v_dot2_f32_f16 v95, v8, v12, v95
	;;#ASMEND
	;;#ASMSTART
	v_dot2_f32_f16 v95, v9, v13, v95
	;;#ASMEND
	;;#ASMSTART
	v_dot2_f32_f16 v95, v10, v14, v95
	;;#ASMEND
	;;#ASMSTART
	v_dot2_f32_f16 v95, v11, v15, v95
	;;#ASMEND
	s_wait_dscnt 0x5
	;;#ASMSTART
	v_dot2_f32_f16 v103, v8, v16, v103
	;;#ASMEND
	;;#ASMSTART
	v_dot2_f32_f16 v103, v9, v17, v103
	;;#ASMEND
	;;#ASMSTART
	v_dot2_f32_f16 v103, v10, v18, v103
	;;#ASMEND
	;;#ASMSTART
	v_dot2_f32_f16 v103, v11, v19, v103
	;;#ASMEND
	;; [unrolled: 13-line block ×5, first 2 shown]
	;;#ASMSTART
	v_dot2_f32_f16 v104, v28, v16, v104
	;;#ASMEND
	;;#ASMSTART
	v_dot2_f32_f16 v104, v29, v17, v104
	;;#ASMEND
	;; [unrolled: 3-line block ×12, first 2 shown]
	s_wait_dscnt 0x1
	;;#ASMSTART
	v_dot2_f32_f16 v97, v112, v12, v97
	;;#ASMEND
	;;#ASMSTART
	v_dot2_f32_f16 v97, v113, v13, v97
	;;#ASMEND
	;; [unrolled: 3-line block ×16, first 2 shown]
	s_wait_dscnt 0x0
	;;#ASMSTART
	v_dot2_f32_f16 v98, v116, v12, v98
	;;#ASMEND
	;;#ASMSTART
	v_dot2_f32_f16 v98, v117, v13, v98
	;;#ASMEND
	;; [unrolled: 3-line block ×16, first 2 shown]
	ds_load_b128 v[8:11], v76 offset:48
	ds_load_b128 v[12:15], v69 offset:176
	;; [unrolled: 1-line block ×8, first 2 shown]
	s_wait_dscnt 0x6
	;;#ASMSTART
	v_dot2_f32_f16 v95, v8, v12, v95
	;;#ASMEND
	;;#ASMSTART
	v_dot2_f32_f16 v95, v9, v13, v95
	;;#ASMEND
	;;#ASMSTART
	v_dot2_f32_f16 v95, v10, v14, v95
	;;#ASMEND
	;;#ASMSTART
	v_dot2_f32_f16 v95, v11, v15, v95
	;;#ASMEND
	s_wait_dscnt 0x5
	;;#ASMSTART
	v_dot2_f32_f16 v103, v8, v16, v103
	;;#ASMEND
	;;#ASMSTART
	v_dot2_f32_f16 v103, v9, v17, v103
	;;#ASMEND
	;;#ASMSTART
	v_dot2_f32_f16 v103, v10, v18, v103
	;;#ASMEND
	;;#ASMSTART
	v_dot2_f32_f16 v103, v11, v19, v103
	;;#ASMEND
	;; [unrolled: 13-line block ×5, first 2 shown]
	;;#ASMSTART
	v_dot2_f32_f16 v104, v28, v16, v104
	;;#ASMEND
	;;#ASMSTART
	v_dot2_f32_f16 v104, v29, v17, v104
	;;#ASMEND
	;; [unrolled: 3-line block ×12, first 2 shown]
	s_wait_dscnt 0x1
	;;#ASMSTART
	v_dot2_f32_f16 v97, v112, v12, v97
	;;#ASMEND
	;;#ASMSTART
	v_dot2_f32_f16 v97, v113, v13, v97
	;;#ASMEND
	;; [unrolled: 3-line block ×16, first 2 shown]
	s_wait_dscnt 0x0
	;;#ASMSTART
	v_dot2_f32_f16 v98, v116, v12, v98
	;;#ASMEND
	;;#ASMSTART
	v_dot2_f32_f16 v98, v117, v13, v98
	;;#ASMEND
	;; [unrolled: 3-line block ×16, first 2 shown]
	ds_load_b128 v[8:11], v76 offset:64
	ds_load_b128 v[12:15], v69 offset:192
	;; [unrolled: 1-line block ×8, first 2 shown]
	s_wait_dscnt 0x6
	;;#ASMSTART
	v_dot2_f32_f16 v95, v8, v12, v95
	;;#ASMEND
	;;#ASMSTART
	v_dot2_f32_f16 v95, v9, v13, v95
	;;#ASMEND
	;;#ASMSTART
	v_dot2_f32_f16 v95, v10, v14, v95
	;;#ASMEND
	;;#ASMSTART
	v_dot2_f32_f16 v95, v11, v15, v95
	;;#ASMEND
	s_wait_dscnt 0x5
	;;#ASMSTART
	v_dot2_f32_f16 v103, v8, v16, v103
	;;#ASMEND
	;;#ASMSTART
	v_dot2_f32_f16 v103, v9, v17, v103
	;;#ASMEND
	;;#ASMSTART
	v_dot2_f32_f16 v103, v10, v18, v103
	;;#ASMEND
	;;#ASMSTART
	v_dot2_f32_f16 v103, v11, v19, v103
	;;#ASMEND
	;; [unrolled: 13-line block ×5, first 2 shown]
	;;#ASMSTART
	v_dot2_f32_f16 v104, v28, v16, v104
	;;#ASMEND
	;;#ASMSTART
	v_dot2_f32_f16 v104, v29, v17, v104
	;;#ASMEND
	;; [unrolled: 3-line block ×12, first 2 shown]
	s_wait_dscnt 0x1
	;;#ASMSTART
	v_dot2_f32_f16 v97, v112, v12, v97
	;;#ASMEND
	;;#ASMSTART
	v_dot2_f32_f16 v97, v113, v13, v97
	;;#ASMEND
	;; [unrolled: 3-line block ×16, first 2 shown]
	s_wait_dscnt 0x0
	;;#ASMSTART
	v_dot2_f32_f16 v98, v116, v12, v98
	;;#ASMEND
	;;#ASMSTART
	v_dot2_f32_f16 v98, v117, v13, v98
	;;#ASMEND
	;; [unrolled: 3-line block ×16, first 2 shown]
	ds_load_b128 v[8:11], v76 offset:80
	ds_load_b128 v[12:15], v69 offset:208
	;; [unrolled: 1-line block ×8, first 2 shown]
	s_wait_dscnt 0x6
	;;#ASMSTART
	v_dot2_f32_f16 v95, v8, v12, v95
	;;#ASMEND
	;;#ASMSTART
	v_dot2_f32_f16 v95, v9, v13, v95
	;;#ASMEND
	;;#ASMSTART
	v_dot2_f32_f16 v95, v10, v14, v95
	;;#ASMEND
	;;#ASMSTART
	v_dot2_f32_f16 v95, v11, v15, v95
	;;#ASMEND
	s_wait_dscnt 0x5
	;;#ASMSTART
	v_dot2_f32_f16 v103, v8, v16, v103
	;;#ASMEND
	;;#ASMSTART
	v_dot2_f32_f16 v103, v9, v17, v103
	;;#ASMEND
	;;#ASMSTART
	v_dot2_f32_f16 v103, v10, v18, v103
	;;#ASMEND
	;;#ASMSTART
	v_dot2_f32_f16 v103, v11, v19, v103
	;;#ASMEND
	;; [unrolled: 13-line block ×5, first 2 shown]
	;;#ASMSTART
	v_dot2_f32_f16 v104, v28, v16, v104
	;;#ASMEND
	;;#ASMSTART
	v_dot2_f32_f16 v104, v29, v17, v104
	;;#ASMEND
	;; [unrolled: 3-line block ×12, first 2 shown]
	s_wait_dscnt 0x1
	;;#ASMSTART
	v_dot2_f32_f16 v97, v112, v12, v97
	;;#ASMEND
	;;#ASMSTART
	v_dot2_f32_f16 v97, v113, v13, v97
	;;#ASMEND
	;; [unrolled: 3-line block ×16, first 2 shown]
	s_wait_dscnt 0x0
	;;#ASMSTART
	v_dot2_f32_f16 v98, v116, v12, v98
	;;#ASMEND
	;;#ASMSTART
	v_dot2_f32_f16 v98, v117, v13, v98
	;;#ASMEND
	;; [unrolled: 3-line block ×16, first 2 shown]
	ds_load_b128 v[8:11], v76 offset:96
	ds_load_b128 v[12:15], v69 offset:224
	;; [unrolled: 1-line block ×8, first 2 shown]
	s_wait_dscnt 0x6
	;;#ASMSTART
	v_dot2_f32_f16 v95, v8, v12, v95
	;;#ASMEND
	;;#ASMSTART
	v_dot2_f32_f16 v95, v9, v13, v95
	;;#ASMEND
	;;#ASMSTART
	v_dot2_f32_f16 v95, v10, v14, v95
	;;#ASMEND
	;;#ASMSTART
	v_dot2_f32_f16 v95, v11, v15, v95
	;;#ASMEND
	s_wait_dscnt 0x5
	;;#ASMSTART
	v_dot2_f32_f16 v103, v8, v16, v103
	;;#ASMEND
	;;#ASMSTART
	v_dot2_f32_f16 v103, v9, v17, v103
	;;#ASMEND
	;;#ASMSTART
	v_dot2_f32_f16 v103, v10, v18, v103
	;;#ASMEND
	;;#ASMSTART
	v_dot2_f32_f16 v103, v11, v19, v103
	;;#ASMEND
	;; [unrolled: 13-line block ×5, first 2 shown]
	;;#ASMSTART
	v_dot2_f32_f16 v104, v28, v16, v104
	;;#ASMEND
	;;#ASMSTART
	v_dot2_f32_f16 v104, v29, v17, v104
	;;#ASMEND
	;; [unrolled: 3-line block ×12, first 2 shown]
	s_wait_dscnt 0x1
	;;#ASMSTART
	v_dot2_f32_f16 v97, v112, v12, v97
	;;#ASMEND
	;;#ASMSTART
	v_dot2_f32_f16 v97, v113, v13, v97
	;;#ASMEND
	;; [unrolled: 3-line block ×16, first 2 shown]
	s_wait_dscnt 0x0
	;;#ASMSTART
	v_dot2_f32_f16 v98, v116, v12, v98
	;;#ASMEND
	;;#ASMSTART
	v_dot2_f32_f16 v98, v117, v13, v98
	;;#ASMEND
	;; [unrolled: 3-line block ×16, first 2 shown]
	ds_load_b128 v[8:11], v76 offset:112
	ds_load_b128 v[12:15], v69 offset:240
	;; [unrolled: 1-line block ×8, first 2 shown]
	s_wait_dscnt 0x6
	;;#ASMSTART
	v_dot2_f32_f16 v95, v8, v12, v95
	;;#ASMEND
	;;#ASMSTART
	v_dot2_f32_f16 v95, v9, v13, v95
	;;#ASMEND
	;;#ASMSTART
	v_dot2_f32_f16 v95, v10, v14, v95
	;;#ASMEND
	;;#ASMSTART
	v_dot2_f32_f16 v95, v11, v15, v95
	;;#ASMEND
	s_wait_dscnt 0x5
	;;#ASMSTART
	v_dot2_f32_f16 v103, v8, v16, v103
	;;#ASMEND
	;;#ASMSTART
	v_dot2_f32_f16 v103, v9, v17, v103
	;;#ASMEND
	;;#ASMSTART
	v_dot2_f32_f16 v103, v10, v18, v103
	;;#ASMEND
	;;#ASMSTART
	v_dot2_f32_f16 v103, v11, v19, v103
	;;#ASMEND
	;; [unrolled: 13-line block ×5, first 2 shown]
	;;#ASMSTART
	v_dot2_f32_f16 v104, v28, v16, v104
	;;#ASMEND
	;;#ASMSTART
	v_dot2_f32_f16 v104, v29, v17, v104
	;;#ASMEND
	;;#ASMSTART
	v_dot2_f32_f16 v104, v30, v18, v104
	;;#ASMEND
	;;#ASMSTART
	v_dot2_f32_f16 v104, v31, v19, v104
	;;#ASMEND
	;;#ASMSTART
	v_dot2_f32_f16 v101, v28, v20, v101
	;;#ASMEND
	;;#ASMSTART
	v_dot2_f32_f16 v101, v29, v21, v101
	;;#ASMEND
	;;#ASMSTART
	v_dot2_f32_f16 v101, v30, v22, v101
	;;#ASMEND
	;;#ASMSTART
	v_dot2_f32_f16 v101, v31, v23, v101
	;;#ASMEND
	;;#ASMSTART
	v_dot2_f32_f16 v108, v28, v24, v108
	;;#ASMEND
	;;#ASMSTART
	v_dot2_f32_f16 v108, v29, v25, v108
	;;#ASMEND
	;;#ASMSTART
	v_dot2_f32_f16 v108, v30, v26, v108
	;;#ASMEND
	;;#ASMSTART
	v_dot2_f32_f16 v108, v31, v27, v108
	;;#ASMEND
	s_wait_dscnt 0x1
	;;#ASMSTART
	v_dot2_f32_f16 v97, v112, v12, v97
	;;#ASMEND
	;;#ASMSTART
	v_dot2_f32_f16 v97, v113, v13, v97
	;;#ASMEND
	;; [unrolled: 3-line block ×16, first 2 shown]
	s_wait_dscnt 0x0
	;;#ASMSTART
	v_dot2_f32_f16 v98, v116, v12, v98
	;;#ASMEND
	;;#ASMSTART
	v_dot2_f32_f16 v98, v117, v13, v98
	;;#ASMEND
	;; [unrolled: 3-line block ×16, first 2 shown]
	s_barrier_signal -1
	s_barrier_wait -1
	s_clause 0x3
	global_load_b128 v[8:11], v[0:1], off offset:256
	global_load_b128 v[12:15], v[2:3], off offset:256
	;; [unrolled: 1-line block ×4, first 2 shown]
	s_wait_loadcnt 0x3
	ds_store_b128 v72, v[8:11]
	s_wait_loadcnt 0x2
	ds_store_b128 v73, v[12:15]
	;; [unrolled: 2-line block ×4, first 2 shown]
	s_wait_dscnt 0x0
	s_barrier_signal -1
	s_barrier_wait -1
	ds_load_b128 v[8:11], v76
	ds_load_b128 v[12:15], v69 offset:256
	ds_load_b128 v[16:19], v69 offset:896
	;; [unrolled: 1-line block ×7, first 2 shown]
	s_wait_dscnt 0x6
	;;#ASMSTART
	v_dot2_f32_f16 v95, v8, v12, v95
	;;#ASMEND
	;;#ASMSTART
	v_dot2_f32_f16 v95, v9, v13, v95
	;;#ASMEND
	;;#ASMSTART
	v_dot2_f32_f16 v95, v10, v14, v95
	;;#ASMEND
	;;#ASMSTART
	v_dot2_f32_f16 v95, v11, v15, v95
	;;#ASMEND
	s_wait_dscnt 0x5
	;;#ASMSTART
	v_dot2_f32_f16 v103, v8, v16, v103
	;;#ASMEND
	;;#ASMSTART
	v_dot2_f32_f16 v103, v9, v17, v103
	;;#ASMEND
	;;#ASMSTART
	v_dot2_f32_f16 v103, v10, v18, v103
	;;#ASMEND
	;;#ASMSTART
	v_dot2_f32_f16 v103, v11, v19, v103
	;;#ASMEND
	;; [unrolled: 13-line block ×5, first 2 shown]
	;;#ASMSTART
	v_dot2_f32_f16 v104, v28, v16, v104
	;;#ASMEND
	;;#ASMSTART
	v_dot2_f32_f16 v104, v29, v17, v104
	;;#ASMEND
	;; [unrolled: 3-line block ×12, first 2 shown]
	s_wait_dscnt 0x1
	;;#ASMSTART
	v_dot2_f32_f16 v97, v112, v12, v97
	;;#ASMEND
	;;#ASMSTART
	v_dot2_f32_f16 v97, v113, v13, v97
	;;#ASMEND
	;; [unrolled: 3-line block ×16, first 2 shown]
	s_wait_dscnt 0x0
	;;#ASMSTART
	v_dot2_f32_f16 v98, v116, v12, v98
	;;#ASMEND
	;;#ASMSTART
	v_dot2_f32_f16 v98, v117, v13, v98
	;;#ASMEND
	;; [unrolled: 3-line block ×16, first 2 shown]
	ds_load_b128 v[8:11], v76 offset:16
	ds_load_b128 v[12:15], v69 offset:272
	;; [unrolled: 1-line block ×8, first 2 shown]
	s_wait_dscnt 0x6
	;;#ASMSTART
	v_dot2_f32_f16 v95, v8, v12, v95
	;;#ASMEND
	;;#ASMSTART
	v_dot2_f32_f16 v95, v9, v13, v95
	;;#ASMEND
	;;#ASMSTART
	v_dot2_f32_f16 v95, v10, v14, v95
	;;#ASMEND
	;;#ASMSTART
	v_dot2_f32_f16 v95, v11, v15, v95
	;;#ASMEND
	s_wait_dscnt 0x5
	;;#ASMSTART
	v_dot2_f32_f16 v103, v8, v16, v103
	;;#ASMEND
	;;#ASMSTART
	v_dot2_f32_f16 v103, v9, v17, v103
	;;#ASMEND
	;;#ASMSTART
	v_dot2_f32_f16 v103, v10, v18, v103
	;;#ASMEND
	;;#ASMSTART
	v_dot2_f32_f16 v103, v11, v19, v103
	;;#ASMEND
	;; [unrolled: 13-line block ×5, first 2 shown]
	;;#ASMSTART
	v_dot2_f32_f16 v104, v28, v16, v104
	;;#ASMEND
	;;#ASMSTART
	v_dot2_f32_f16 v104, v29, v17, v104
	;;#ASMEND
	;;#ASMSTART
	v_dot2_f32_f16 v104, v30, v18, v104
	;;#ASMEND
	;;#ASMSTART
	v_dot2_f32_f16 v104, v31, v19, v104
	;;#ASMEND
	;;#ASMSTART
	v_dot2_f32_f16 v101, v28, v20, v101
	;;#ASMEND
	;;#ASMSTART
	v_dot2_f32_f16 v101, v29, v21, v101
	;;#ASMEND
	;;#ASMSTART
	v_dot2_f32_f16 v101, v30, v22, v101
	;;#ASMEND
	;;#ASMSTART
	v_dot2_f32_f16 v101, v31, v23, v101
	;;#ASMEND
	;;#ASMSTART
	v_dot2_f32_f16 v108, v28, v24, v108
	;;#ASMEND
	;;#ASMSTART
	v_dot2_f32_f16 v108, v29, v25, v108
	;;#ASMEND
	;;#ASMSTART
	v_dot2_f32_f16 v108, v30, v26, v108
	;;#ASMEND
	;;#ASMSTART
	v_dot2_f32_f16 v108, v31, v27, v108
	;;#ASMEND
	s_wait_dscnt 0x1
	;;#ASMSTART
	v_dot2_f32_f16 v97, v112, v12, v97
	;;#ASMEND
	;;#ASMSTART
	v_dot2_f32_f16 v97, v113, v13, v97
	;;#ASMEND
	;; [unrolled: 3-line block ×16, first 2 shown]
	s_wait_dscnt 0x0
	;;#ASMSTART
	v_dot2_f32_f16 v98, v116, v12, v98
	;;#ASMEND
	;;#ASMSTART
	v_dot2_f32_f16 v98, v117, v13, v98
	;;#ASMEND
	;; [unrolled: 3-line block ×16, first 2 shown]
	ds_load_b128 v[8:11], v76 offset:32
	ds_load_b128 v[12:15], v69 offset:288
	;; [unrolled: 1-line block ×8, first 2 shown]
	s_wait_dscnt 0x6
	;;#ASMSTART
	v_dot2_f32_f16 v95, v8, v12, v95
	;;#ASMEND
	;;#ASMSTART
	v_dot2_f32_f16 v95, v9, v13, v95
	;;#ASMEND
	;;#ASMSTART
	v_dot2_f32_f16 v95, v10, v14, v95
	;;#ASMEND
	;;#ASMSTART
	v_dot2_f32_f16 v95, v11, v15, v95
	;;#ASMEND
	s_wait_dscnt 0x5
	;;#ASMSTART
	v_dot2_f32_f16 v103, v8, v16, v103
	;;#ASMEND
	;;#ASMSTART
	v_dot2_f32_f16 v103, v9, v17, v103
	;;#ASMEND
	;;#ASMSTART
	v_dot2_f32_f16 v103, v10, v18, v103
	;;#ASMEND
	;;#ASMSTART
	v_dot2_f32_f16 v103, v11, v19, v103
	;;#ASMEND
	;; [unrolled: 13-line block ×5, first 2 shown]
	;;#ASMSTART
	v_dot2_f32_f16 v104, v28, v16, v104
	;;#ASMEND
	;;#ASMSTART
	v_dot2_f32_f16 v104, v29, v17, v104
	;;#ASMEND
	;; [unrolled: 3-line block ×12, first 2 shown]
	s_wait_dscnt 0x1
	;;#ASMSTART
	v_dot2_f32_f16 v97, v112, v12, v97
	;;#ASMEND
	;;#ASMSTART
	v_dot2_f32_f16 v97, v113, v13, v97
	;;#ASMEND
	;; [unrolled: 3-line block ×16, first 2 shown]
	s_wait_dscnt 0x0
	;;#ASMSTART
	v_dot2_f32_f16 v98, v116, v12, v98
	;;#ASMEND
	;;#ASMSTART
	v_dot2_f32_f16 v98, v117, v13, v98
	;;#ASMEND
	;; [unrolled: 3-line block ×16, first 2 shown]
	ds_load_b128 v[8:11], v76 offset:48
	ds_load_b128 v[12:15], v69 offset:304
	;; [unrolled: 1-line block ×8, first 2 shown]
	s_wait_dscnt 0x6
	;;#ASMSTART
	v_dot2_f32_f16 v95, v8, v12, v95
	;;#ASMEND
	;;#ASMSTART
	v_dot2_f32_f16 v95, v9, v13, v95
	;;#ASMEND
	;;#ASMSTART
	v_dot2_f32_f16 v95, v10, v14, v95
	;;#ASMEND
	;;#ASMSTART
	v_dot2_f32_f16 v95, v11, v15, v95
	;;#ASMEND
	s_wait_dscnt 0x5
	;;#ASMSTART
	v_dot2_f32_f16 v103, v8, v16, v103
	;;#ASMEND
	;;#ASMSTART
	v_dot2_f32_f16 v103, v9, v17, v103
	;;#ASMEND
	;;#ASMSTART
	v_dot2_f32_f16 v103, v10, v18, v103
	;;#ASMEND
	;;#ASMSTART
	v_dot2_f32_f16 v103, v11, v19, v103
	;;#ASMEND
	;; [unrolled: 13-line block ×5, first 2 shown]
	;;#ASMSTART
	v_dot2_f32_f16 v104, v28, v16, v104
	;;#ASMEND
	;;#ASMSTART
	v_dot2_f32_f16 v104, v29, v17, v104
	;;#ASMEND
	;; [unrolled: 3-line block ×12, first 2 shown]
	s_wait_dscnt 0x1
	;;#ASMSTART
	v_dot2_f32_f16 v97, v112, v12, v97
	;;#ASMEND
	;;#ASMSTART
	v_dot2_f32_f16 v97, v113, v13, v97
	;;#ASMEND
	;; [unrolled: 3-line block ×16, first 2 shown]
	s_wait_dscnt 0x0
	;;#ASMSTART
	v_dot2_f32_f16 v98, v116, v12, v98
	;;#ASMEND
	;;#ASMSTART
	v_dot2_f32_f16 v98, v117, v13, v98
	;;#ASMEND
	;; [unrolled: 3-line block ×16, first 2 shown]
	ds_load_b128 v[8:11], v76 offset:64
	ds_load_b128 v[12:15], v69 offset:320
	;; [unrolled: 1-line block ×8, first 2 shown]
	s_wait_dscnt 0x6
	;;#ASMSTART
	v_dot2_f32_f16 v95, v8, v12, v95
	;;#ASMEND
	;;#ASMSTART
	v_dot2_f32_f16 v95, v9, v13, v95
	;;#ASMEND
	;;#ASMSTART
	v_dot2_f32_f16 v95, v10, v14, v95
	;;#ASMEND
	;;#ASMSTART
	v_dot2_f32_f16 v95, v11, v15, v95
	;;#ASMEND
	s_wait_dscnt 0x5
	;;#ASMSTART
	v_dot2_f32_f16 v103, v8, v16, v103
	;;#ASMEND
	;;#ASMSTART
	v_dot2_f32_f16 v103, v9, v17, v103
	;;#ASMEND
	;;#ASMSTART
	v_dot2_f32_f16 v103, v10, v18, v103
	;;#ASMEND
	;;#ASMSTART
	v_dot2_f32_f16 v103, v11, v19, v103
	;;#ASMEND
	;; [unrolled: 13-line block ×5, first 2 shown]
	;;#ASMSTART
	v_dot2_f32_f16 v104, v28, v16, v104
	;;#ASMEND
	;;#ASMSTART
	v_dot2_f32_f16 v104, v29, v17, v104
	;;#ASMEND
	;; [unrolled: 3-line block ×12, first 2 shown]
	s_wait_dscnt 0x1
	;;#ASMSTART
	v_dot2_f32_f16 v97, v112, v12, v97
	;;#ASMEND
	;;#ASMSTART
	v_dot2_f32_f16 v97, v113, v13, v97
	;;#ASMEND
	;; [unrolled: 3-line block ×16, first 2 shown]
	s_wait_dscnt 0x0
	;;#ASMSTART
	v_dot2_f32_f16 v98, v116, v12, v98
	;;#ASMEND
	;;#ASMSTART
	v_dot2_f32_f16 v98, v117, v13, v98
	;;#ASMEND
	;; [unrolled: 3-line block ×16, first 2 shown]
	ds_load_b128 v[8:11], v76 offset:80
	ds_load_b128 v[12:15], v69 offset:336
	;; [unrolled: 1-line block ×8, first 2 shown]
	s_wait_dscnt 0x6
	;;#ASMSTART
	v_dot2_f32_f16 v95, v8, v12, v95
	;;#ASMEND
	;;#ASMSTART
	v_dot2_f32_f16 v95, v9, v13, v95
	;;#ASMEND
	;;#ASMSTART
	v_dot2_f32_f16 v95, v10, v14, v95
	;;#ASMEND
	;;#ASMSTART
	v_dot2_f32_f16 v95, v11, v15, v95
	;;#ASMEND
	s_wait_dscnt 0x5
	;;#ASMSTART
	v_dot2_f32_f16 v103, v8, v16, v103
	;;#ASMEND
	;;#ASMSTART
	v_dot2_f32_f16 v103, v9, v17, v103
	;;#ASMEND
	;;#ASMSTART
	v_dot2_f32_f16 v103, v10, v18, v103
	;;#ASMEND
	;;#ASMSTART
	v_dot2_f32_f16 v103, v11, v19, v103
	;;#ASMEND
	;; [unrolled: 13-line block ×5, first 2 shown]
	;;#ASMSTART
	v_dot2_f32_f16 v104, v28, v16, v104
	;;#ASMEND
	;;#ASMSTART
	v_dot2_f32_f16 v104, v29, v17, v104
	;;#ASMEND
	;; [unrolled: 3-line block ×12, first 2 shown]
	s_wait_dscnt 0x1
	;;#ASMSTART
	v_dot2_f32_f16 v97, v112, v12, v97
	;;#ASMEND
	;;#ASMSTART
	v_dot2_f32_f16 v97, v113, v13, v97
	;;#ASMEND
	;; [unrolled: 3-line block ×16, first 2 shown]
	s_wait_dscnt 0x0
	;;#ASMSTART
	v_dot2_f32_f16 v98, v116, v12, v98
	;;#ASMEND
	;;#ASMSTART
	v_dot2_f32_f16 v98, v117, v13, v98
	;;#ASMEND
	;; [unrolled: 3-line block ×16, first 2 shown]
	ds_load_b128 v[8:11], v76 offset:96
	ds_load_b128 v[12:15], v69 offset:352
	;; [unrolled: 1-line block ×8, first 2 shown]
	s_wait_dscnt 0x6
	;;#ASMSTART
	v_dot2_f32_f16 v95, v8, v12, v95
	;;#ASMEND
	;;#ASMSTART
	v_dot2_f32_f16 v95, v9, v13, v95
	;;#ASMEND
	;;#ASMSTART
	v_dot2_f32_f16 v95, v10, v14, v95
	;;#ASMEND
	;;#ASMSTART
	v_dot2_f32_f16 v95, v11, v15, v95
	;;#ASMEND
	s_wait_dscnt 0x5
	;;#ASMSTART
	v_dot2_f32_f16 v103, v8, v16, v103
	;;#ASMEND
	;;#ASMSTART
	v_dot2_f32_f16 v103, v9, v17, v103
	;;#ASMEND
	;;#ASMSTART
	v_dot2_f32_f16 v103, v10, v18, v103
	;;#ASMEND
	;;#ASMSTART
	v_dot2_f32_f16 v103, v11, v19, v103
	;;#ASMEND
	s_wait_dscnt 0x4
	;;#ASMSTART
	v_dot2_f32_f16 v100, v8, v20, v100
	;;#ASMEND
	;;#ASMSTART
	v_dot2_f32_f16 v100, v9, v21, v100
	;;#ASMEND
	;;#ASMSTART
	v_dot2_f32_f16 v100, v10, v22, v100
	;;#ASMEND
	;;#ASMSTART
	v_dot2_f32_f16 v100, v11, v23, v100
	;;#ASMEND
	s_wait_dscnt 0x3
	;;#ASMSTART
	v_dot2_f32_f16 v107, v8, v24, v107
	;;#ASMEND
	;;#ASMSTART
	v_dot2_f32_f16 v107, v9, v25, v107
	;;#ASMEND
	;;#ASMSTART
	v_dot2_f32_f16 v107, v10, v26, v107
	;;#ASMEND
	;;#ASMSTART
	v_dot2_f32_f16 v107, v11, v27, v107
	;;#ASMEND
	s_wait_dscnt 0x2
	;;#ASMSTART
	v_dot2_f32_f16 v96, v28, v12, v96
	;;#ASMEND
	;;#ASMSTART
	v_dot2_f32_f16 v96, v29, v13, v96
	;;#ASMEND
	;;#ASMSTART
	v_dot2_f32_f16 v96, v30, v14, v96
	;;#ASMEND
	;;#ASMSTART
	v_dot2_f32_f16 v96, v31, v15, v96
	;;#ASMEND
	;;#ASMSTART
	v_dot2_f32_f16 v104, v28, v16, v104
	;;#ASMEND
	;;#ASMSTART
	v_dot2_f32_f16 v104, v29, v17, v104
	;;#ASMEND
	;;#ASMSTART
	v_dot2_f32_f16 v104, v30, v18, v104
	;;#ASMEND
	;;#ASMSTART
	v_dot2_f32_f16 v104, v31, v19, v104
	;;#ASMEND
	;;#ASMSTART
	v_dot2_f32_f16 v101, v28, v20, v101
	;;#ASMEND
	;;#ASMSTART
	v_dot2_f32_f16 v101, v29, v21, v101
	;;#ASMEND
	;;#ASMSTART
	v_dot2_f32_f16 v101, v30, v22, v101
	;;#ASMEND
	;;#ASMSTART
	v_dot2_f32_f16 v101, v31, v23, v101
	;;#ASMEND
	;;#ASMSTART
	v_dot2_f32_f16 v108, v28, v24, v108
	;;#ASMEND
	;;#ASMSTART
	v_dot2_f32_f16 v108, v29, v25, v108
	;;#ASMEND
	;;#ASMSTART
	v_dot2_f32_f16 v108, v30, v26, v108
	;;#ASMEND
	;;#ASMSTART
	v_dot2_f32_f16 v108, v31, v27, v108
	;;#ASMEND
	s_wait_dscnt 0x1
	;;#ASMSTART
	v_dot2_f32_f16 v97, v112, v12, v97
	;;#ASMEND
	;;#ASMSTART
	v_dot2_f32_f16 v97, v113, v13, v97
	;;#ASMEND
	;; [unrolled: 3-line block ×16, first 2 shown]
	s_wait_dscnt 0x0
	;;#ASMSTART
	v_dot2_f32_f16 v98, v116, v12, v98
	;;#ASMEND
	;;#ASMSTART
	v_dot2_f32_f16 v98, v117, v13, v98
	;;#ASMEND
	;; [unrolled: 3-line block ×16, first 2 shown]
	ds_load_b128 v[8:11], v76 offset:112
	ds_load_b128 v[12:15], v69 offset:368
	ds_load_b128 v[16:19], v69 offset:1008
	ds_load_b128 v[20:23], v69 offset:1648
	ds_load_b128 v[24:27], v69 offset:2288
	ds_load_b128 v[28:31], v76 offset:4720
	ds_load_b128 v[112:115], v76 offset:9328
	ds_load_b128 v[116:119], v76 offset:13936
	s_wait_dscnt 0x6
	;;#ASMSTART
	v_dot2_f32_f16 v95, v8, v12, v95
	;;#ASMEND
	;;#ASMSTART
	v_dot2_f32_f16 v95, v9, v13, v95
	;;#ASMEND
	;;#ASMSTART
	v_dot2_f32_f16 v95, v10, v14, v95
	;;#ASMEND
	;;#ASMSTART
	v_dot2_f32_f16 v95, v11, v15, v95
	;;#ASMEND
	s_wait_dscnt 0x5
	;;#ASMSTART
	v_dot2_f32_f16 v103, v8, v16, v103
	;;#ASMEND
	;;#ASMSTART
	v_dot2_f32_f16 v103, v9, v17, v103
	;;#ASMEND
	;;#ASMSTART
	v_dot2_f32_f16 v103, v10, v18, v103
	;;#ASMEND
	;;#ASMSTART
	v_dot2_f32_f16 v103, v11, v19, v103
	;;#ASMEND
	;; [unrolled: 13-line block ×5, first 2 shown]
	;;#ASMSTART
	v_dot2_f32_f16 v104, v28, v16, v104
	;;#ASMEND
	;;#ASMSTART
	v_dot2_f32_f16 v104, v29, v17, v104
	;;#ASMEND
	;;#ASMSTART
	v_dot2_f32_f16 v104, v30, v18, v104
	;;#ASMEND
	;;#ASMSTART
	v_dot2_f32_f16 v104, v31, v19, v104
	;;#ASMEND
	;;#ASMSTART
	v_dot2_f32_f16 v101, v28, v20, v101
	;;#ASMEND
	;;#ASMSTART
	v_dot2_f32_f16 v101, v29, v21, v101
	;;#ASMEND
	;;#ASMSTART
	v_dot2_f32_f16 v101, v30, v22, v101
	;;#ASMEND
	;;#ASMSTART
	v_dot2_f32_f16 v101, v31, v23, v101
	;;#ASMEND
	;;#ASMSTART
	v_dot2_f32_f16 v108, v28, v24, v108
	;;#ASMEND
	;;#ASMSTART
	v_dot2_f32_f16 v108, v29, v25, v108
	;;#ASMEND
	;;#ASMSTART
	v_dot2_f32_f16 v108, v30, v26, v108
	;;#ASMEND
	;;#ASMSTART
	v_dot2_f32_f16 v108, v31, v27, v108
	;;#ASMEND
	s_wait_dscnt 0x1
	;;#ASMSTART
	v_dot2_f32_f16 v97, v112, v12, v97
	;;#ASMEND
	;;#ASMSTART
	v_dot2_f32_f16 v97, v113, v13, v97
	;;#ASMEND
	;; [unrolled: 3-line block ×16, first 2 shown]
	s_wait_dscnt 0x0
	;;#ASMSTART
	v_dot2_f32_f16 v98, v116, v12, v98
	;;#ASMEND
	;;#ASMSTART
	v_dot2_f32_f16 v98, v117, v13, v98
	;;#ASMEND
	;; [unrolled: 3-line block ×16, first 2 shown]
	s_barrier_signal -1
	s_barrier_wait -1
	s_clause 0x3
	global_load_b128 v[8:11], v[0:1], off offset:384
	global_load_b128 v[12:15], v[2:3], off offset:384
	;; [unrolled: 1-line block ×4, first 2 shown]
	s_wait_loadcnt 0x3
	ds_store_b128 v72, v[8:11]
	s_wait_loadcnt 0x2
	ds_store_b128 v73, v[12:15]
	;; [unrolled: 2-line block ×4, first 2 shown]
	s_wait_dscnt 0x0
	s_barrier_signal -1
	s_barrier_wait -1
	ds_load_b128 v[8:11], v76
	ds_load_b128 v[12:15], v69 offset:384
	ds_load_b128 v[16:19], v69 offset:1024
	;; [unrolled: 1-line block ×7, first 2 shown]
	s_wait_dscnt 0x6
	;;#ASMSTART
	v_dot2_f32_f16 v95, v8, v12, v95
	;;#ASMEND
	;;#ASMSTART
	v_dot2_f32_f16 v95, v9, v13, v95
	;;#ASMEND
	;;#ASMSTART
	v_dot2_f32_f16 v95, v10, v14, v95
	;;#ASMEND
	;;#ASMSTART
	v_dot2_f32_f16 v95, v11, v15, v95
	;;#ASMEND
	s_wait_dscnt 0x5
	;;#ASMSTART
	v_dot2_f32_f16 v103, v8, v16, v103
	;;#ASMEND
	;;#ASMSTART
	v_dot2_f32_f16 v103, v9, v17, v103
	;;#ASMEND
	;;#ASMSTART
	v_dot2_f32_f16 v103, v10, v18, v103
	;;#ASMEND
	;;#ASMSTART
	v_dot2_f32_f16 v103, v11, v19, v103
	;;#ASMEND
	;; [unrolled: 13-line block ×5, first 2 shown]
	;;#ASMSTART
	v_dot2_f32_f16 v104, v28, v16, v104
	;;#ASMEND
	;;#ASMSTART
	v_dot2_f32_f16 v104, v29, v17, v104
	;;#ASMEND
	;; [unrolled: 3-line block ×12, first 2 shown]
	s_wait_dscnt 0x1
	;;#ASMSTART
	v_dot2_f32_f16 v97, v112, v12, v97
	;;#ASMEND
	;;#ASMSTART
	v_dot2_f32_f16 v97, v113, v13, v97
	;;#ASMEND
	;; [unrolled: 3-line block ×16, first 2 shown]
	s_wait_dscnt 0x0
	;;#ASMSTART
	v_dot2_f32_f16 v98, v116, v12, v98
	;;#ASMEND
	;;#ASMSTART
	v_dot2_f32_f16 v98, v117, v13, v98
	;;#ASMEND
	;; [unrolled: 3-line block ×16, first 2 shown]
	ds_load_b128 v[8:11], v76 offset:16
	ds_load_b128 v[12:15], v69 offset:400
	;; [unrolled: 1-line block ×8, first 2 shown]
	s_wait_dscnt 0x6
	;;#ASMSTART
	v_dot2_f32_f16 v95, v8, v12, v95
	;;#ASMEND
	;;#ASMSTART
	v_dot2_f32_f16 v95, v9, v13, v95
	;;#ASMEND
	;;#ASMSTART
	v_dot2_f32_f16 v95, v10, v14, v95
	;;#ASMEND
	;;#ASMSTART
	v_dot2_f32_f16 v95, v11, v15, v95
	;;#ASMEND
	s_wait_dscnt 0x5
	;;#ASMSTART
	v_dot2_f32_f16 v103, v8, v16, v103
	;;#ASMEND
	;;#ASMSTART
	v_dot2_f32_f16 v103, v9, v17, v103
	;;#ASMEND
	;;#ASMSTART
	v_dot2_f32_f16 v103, v10, v18, v103
	;;#ASMEND
	;;#ASMSTART
	v_dot2_f32_f16 v103, v11, v19, v103
	;;#ASMEND
	;; [unrolled: 13-line block ×5, first 2 shown]
	;;#ASMSTART
	v_dot2_f32_f16 v104, v28, v16, v104
	;;#ASMEND
	;;#ASMSTART
	v_dot2_f32_f16 v104, v29, v17, v104
	;;#ASMEND
	;; [unrolled: 3-line block ×12, first 2 shown]
	s_wait_dscnt 0x1
	;;#ASMSTART
	v_dot2_f32_f16 v97, v112, v12, v97
	;;#ASMEND
	;;#ASMSTART
	v_dot2_f32_f16 v97, v113, v13, v97
	;;#ASMEND
	;; [unrolled: 3-line block ×16, first 2 shown]
	s_wait_dscnt 0x0
	;;#ASMSTART
	v_dot2_f32_f16 v98, v116, v12, v98
	;;#ASMEND
	;;#ASMSTART
	v_dot2_f32_f16 v98, v117, v13, v98
	;;#ASMEND
	;; [unrolled: 3-line block ×16, first 2 shown]
	ds_load_b128 v[8:11], v76 offset:32
	ds_load_b128 v[12:15], v69 offset:416
	;; [unrolled: 1-line block ×8, first 2 shown]
	s_wait_dscnt 0x6
	;;#ASMSTART
	v_dot2_f32_f16 v95, v8, v12, v95
	;;#ASMEND
	;;#ASMSTART
	v_dot2_f32_f16 v95, v9, v13, v95
	;;#ASMEND
	;;#ASMSTART
	v_dot2_f32_f16 v95, v10, v14, v95
	;;#ASMEND
	;;#ASMSTART
	v_dot2_f32_f16 v95, v11, v15, v95
	;;#ASMEND
	s_wait_dscnt 0x5
	;;#ASMSTART
	v_dot2_f32_f16 v103, v8, v16, v103
	;;#ASMEND
	;;#ASMSTART
	v_dot2_f32_f16 v103, v9, v17, v103
	;;#ASMEND
	;;#ASMSTART
	v_dot2_f32_f16 v103, v10, v18, v103
	;;#ASMEND
	;;#ASMSTART
	v_dot2_f32_f16 v103, v11, v19, v103
	;;#ASMEND
	s_wait_dscnt 0x4
	;;#ASMSTART
	v_dot2_f32_f16 v100, v8, v20, v100
	;;#ASMEND
	;;#ASMSTART
	v_dot2_f32_f16 v100, v9, v21, v100
	;;#ASMEND
	;;#ASMSTART
	v_dot2_f32_f16 v100, v10, v22, v100
	;;#ASMEND
	;;#ASMSTART
	v_dot2_f32_f16 v100, v11, v23, v100
	;;#ASMEND
	s_wait_dscnt 0x3
	;;#ASMSTART
	v_dot2_f32_f16 v107, v8, v24, v107
	;;#ASMEND
	;;#ASMSTART
	v_dot2_f32_f16 v107, v9, v25, v107
	;;#ASMEND
	;;#ASMSTART
	v_dot2_f32_f16 v107, v10, v26, v107
	;;#ASMEND
	;;#ASMSTART
	v_dot2_f32_f16 v107, v11, v27, v107
	;;#ASMEND
	s_wait_dscnt 0x2
	;;#ASMSTART
	v_dot2_f32_f16 v96, v28, v12, v96
	;;#ASMEND
	;;#ASMSTART
	v_dot2_f32_f16 v96, v29, v13, v96
	;;#ASMEND
	;;#ASMSTART
	v_dot2_f32_f16 v96, v30, v14, v96
	;;#ASMEND
	;;#ASMSTART
	v_dot2_f32_f16 v96, v31, v15, v96
	;;#ASMEND
	;;#ASMSTART
	v_dot2_f32_f16 v104, v28, v16, v104
	;;#ASMEND
	;;#ASMSTART
	v_dot2_f32_f16 v104, v29, v17, v104
	;;#ASMEND
	;; [unrolled: 3-line block ×12, first 2 shown]
	s_wait_dscnt 0x1
	;;#ASMSTART
	v_dot2_f32_f16 v97, v112, v12, v97
	;;#ASMEND
	;;#ASMSTART
	v_dot2_f32_f16 v97, v113, v13, v97
	;;#ASMEND
	;; [unrolled: 3-line block ×16, first 2 shown]
	s_wait_dscnt 0x0
	;;#ASMSTART
	v_dot2_f32_f16 v98, v116, v12, v98
	;;#ASMEND
	;;#ASMSTART
	v_dot2_f32_f16 v98, v117, v13, v98
	;;#ASMEND
	;; [unrolled: 3-line block ×16, first 2 shown]
	ds_load_b128 v[8:11], v76 offset:48
	ds_load_b128 v[12:15], v69 offset:432
	ds_load_b128 v[16:19], v69 offset:1072
	ds_load_b128 v[20:23], v69 offset:1712
	ds_load_b128 v[24:27], v69 offset:2352
	ds_load_b128 v[28:31], v76 offset:4656
	ds_load_b128 v[112:115], v76 offset:9264
	ds_load_b128 v[116:119], v76 offset:13872
	s_wait_dscnt 0x6
	;;#ASMSTART
	v_dot2_f32_f16 v95, v8, v12, v95
	;;#ASMEND
	;;#ASMSTART
	v_dot2_f32_f16 v95, v9, v13, v95
	;;#ASMEND
	;;#ASMSTART
	v_dot2_f32_f16 v95, v10, v14, v95
	;;#ASMEND
	;;#ASMSTART
	v_dot2_f32_f16 v95, v11, v15, v95
	;;#ASMEND
	s_wait_dscnt 0x5
	;;#ASMSTART
	v_dot2_f32_f16 v103, v8, v16, v103
	;;#ASMEND
	;;#ASMSTART
	v_dot2_f32_f16 v103, v9, v17, v103
	;;#ASMEND
	;;#ASMSTART
	v_dot2_f32_f16 v103, v10, v18, v103
	;;#ASMEND
	;;#ASMSTART
	v_dot2_f32_f16 v103, v11, v19, v103
	;;#ASMEND
	;; [unrolled: 13-line block ×5, first 2 shown]
	;;#ASMSTART
	v_dot2_f32_f16 v104, v28, v16, v104
	;;#ASMEND
	;;#ASMSTART
	v_dot2_f32_f16 v104, v29, v17, v104
	;;#ASMEND
	;; [unrolled: 3-line block ×12, first 2 shown]
	s_wait_dscnt 0x1
	;;#ASMSTART
	v_dot2_f32_f16 v97, v112, v12, v97
	;;#ASMEND
	;;#ASMSTART
	v_dot2_f32_f16 v97, v113, v13, v97
	;;#ASMEND
	;; [unrolled: 3-line block ×16, first 2 shown]
	s_wait_dscnt 0x0
	;;#ASMSTART
	v_dot2_f32_f16 v98, v116, v12, v98
	;;#ASMEND
	;;#ASMSTART
	v_dot2_f32_f16 v98, v117, v13, v98
	;;#ASMEND
	;;#ASMSTART
	v_dot2_f32_f16 v98, v118, v14, v98
	;;#ASMEND
	;;#ASMSTART
	v_dot2_f32_f16 v98, v119, v15, v98
	;;#ASMEND
	;;#ASMSTART
	v_dot2_f32_f16 v106, v116, v16, v106
	;;#ASMEND
	;;#ASMSTART
	v_dot2_f32_f16 v106, v117, v17, v106
	;;#ASMEND
	;;#ASMSTART
	v_dot2_f32_f16 v106, v118, v18, v106
	;;#ASMEND
	;;#ASMSTART
	v_dot2_f32_f16 v106, v119, v19, v106
	;;#ASMEND
	;;#ASMSTART
	v_dot2_f32_f16 v111, v116, v20, v111
	;;#ASMEND
	;;#ASMSTART
	v_dot2_f32_f16 v111, v117, v21, v111
	;;#ASMEND
	;;#ASMSTART
	v_dot2_f32_f16 v111, v118, v22, v111
	;;#ASMEND
	;;#ASMSTART
	v_dot2_f32_f16 v111, v119, v23, v111
	;;#ASMEND
	;;#ASMSTART
	v_dot2_f32_f16 v110, v116, v24, v110
	;;#ASMEND
	;;#ASMSTART
	v_dot2_f32_f16 v110, v117, v25, v110
	;;#ASMEND
	;;#ASMSTART
	v_dot2_f32_f16 v110, v118, v26, v110
	;;#ASMEND
	;;#ASMSTART
	v_dot2_f32_f16 v110, v119, v27, v110
	;;#ASMEND
	ds_load_b128 v[8:11], v76 offset:64
	ds_load_b128 v[12:15], v69 offset:448
	;; [unrolled: 1-line block ×8, first 2 shown]
	s_wait_dscnt 0x6
	;;#ASMSTART
	v_dot2_f32_f16 v95, v8, v12, v95
	;;#ASMEND
	;;#ASMSTART
	v_dot2_f32_f16 v95, v9, v13, v95
	;;#ASMEND
	;;#ASMSTART
	v_dot2_f32_f16 v95, v10, v14, v95
	;;#ASMEND
	;;#ASMSTART
	v_dot2_f32_f16 v95, v11, v15, v95
	;;#ASMEND
	s_wait_dscnt 0x5
	;;#ASMSTART
	v_dot2_f32_f16 v103, v8, v16, v103
	;;#ASMEND
	;;#ASMSTART
	v_dot2_f32_f16 v103, v9, v17, v103
	;;#ASMEND
	;;#ASMSTART
	v_dot2_f32_f16 v103, v10, v18, v103
	;;#ASMEND
	;;#ASMSTART
	v_dot2_f32_f16 v103, v11, v19, v103
	;;#ASMEND
	;; [unrolled: 13-line block ×5, first 2 shown]
	;;#ASMSTART
	v_dot2_f32_f16 v104, v28, v16, v104
	;;#ASMEND
	;;#ASMSTART
	v_dot2_f32_f16 v104, v29, v17, v104
	;;#ASMEND
	;; [unrolled: 3-line block ×12, first 2 shown]
	s_wait_dscnt 0x1
	;;#ASMSTART
	v_dot2_f32_f16 v97, v112, v12, v97
	;;#ASMEND
	;;#ASMSTART
	v_dot2_f32_f16 v97, v113, v13, v97
	;;#ASMEND
	;; [unrolled: 3-line block ×16, first 2 shown]
	s_wait_dscnt 0x0
	;;#ASMSTART
	v_dot2_f32_f16 v98, v116, v12, v98
	;;#ASMEND
	;;#ASMSTART
	v_dot2_f32_f16 v98, v117, v13, v98
	;;#ASMEND
	;; [unrolled: 3-line block ×16, first 2 shown]
	ds_load_b128 v[8:11], v76 offset:80
	ds_load_b128 v[12:15], v69 offset:464
	;; [unrolled: 1-line block ×8, first 2 shown]
	s_wait_dscnt 0x6
	;;#ASMSTART
	v_dot2_f32_f16 v95, v8, v12, v95
	;;#ASMEND
	;;#ASMSTART
	v_dot2_f32_f16 v95, v9, v13, v95
	;;#ASMEND
	;;#ASMSTART
	v_dot2_f32_f16 v95, v10, v14, v95
	;;#ASMEND
	;;#ASMSTART
	v_dot2_f32_f16 v95, v11, v15, v95
	;;#ASMEND
	s_wait_dscnt 0x5
	;;#ASMSTART
	v_dot2_f32_f16 v103, v8, v16, v103
	;;#ASMEND
	;;#ASMSTART
	v_dot2_f32_f16 v103, v9, v17, v103
	;;#ASMEND
	;;#ASMSTART
	v_dot2_f32_f16 v103, v10, v18, v103
	;;#ASMEND
	;;#ASMSTART
	v_dot2_f32_f16 v103, v11, v19, v103
	;;#ASMEND
	;; [unrolled: 13-line block ×5, first 2 shown]
	;;#ASMSTART
	v_dot2_f32_f16 v104, v28, v16, v104
	;;#ASMEND
	;;#ASMSTART
	v_dot2_f32_f16 v104, v29, v17, v104
	;;#ASMEND
	;;#ASMSTART
	v_dot2_f32_f16 v104, v30, v18, v104
	;;#ASMEND
	;;#ASMSTART
	v_dot2_f32_f16 v104, v31, v19, v104
	;;#ASMEND
	;;#ASMSTART
	v_dot2_f32_f16 v101, v28, v20, v101
	;;#ASMEND
	;;#ASMSTART
	v_dot2_f32_f16 v101, v29, v21, v101
	;;#ASMEND
	;;#ASMSTART
	v_dot2_f32_f16 v101, v30, v22, v101
	;;#ASMEND
	;;#ASMSTART
	v_dot2_f32_f16 v101, v31, v23, v101
	;;#ASMEND
	;;#ASMSTART
	v_dot2_f32_f16 v108, v28, v24, v108
	;;#ASMEND
	;;#ASMSTART
	v_dot2_f32_f16 v108, v29, v25, v108
	;;#ASMEND
	;;#ASMSTART
	v_dot2_f32_f16 v108, v30, v26, v108
	;;#ASMEND
	;;#ASMSTART
	v_dot2_f32_f16 v108, v31, v27, v108
	;;#ASMEND
	s_wait_dscnt 0x1
	;;#ASMSTART
	v_dot2_f32_f16 v97, v112, v12, v97
	;;#ASMEND
	;;#ASMSTART
	v_dot2_f32_f16 v97, v113, v13, v97
	;;#ASMEND
	;;#ASMSTART
	v_dot2_f32_f16 v97, v114, v14, v97
	;;#ASMEND
	;;#ASMSTART
	v_dot2_f32_f16 v97, v115, v15, v97
	;;#ASMEND
	;;#ASMSTART
	v_dot2_f32_f16 v105, v112, v16, v105
	;;#ASMEND
	;;#ASMSTART
	v_dot2_f32_f16 v105, v113, v17, v105
	;;#ASMEND
	;;#ASMSTART
	v_dot2_f32_f16 v105, v114, v18, v105
	;;#ASMEND
	;;#ASMSTART
	v_dot2_f32_f16 v105, v115, v19, v105
	;;#ASMEND
	;;#ASMSTART
	v_dot2_f32_f16 v102, v112, v20, v102
	;;#ASMEND
	;;#ASMSTART
	v_dot2_f32_f16 v102, v113, v21, v102
	;;#ASMEND
	;;#ASMSTART
	v_dot2_f32_f16 v102, v114, v22, v102
	;;#ASMEND
	;;#ASMSTART
	v_dot2_f32_f16 v102, v115, v23, v102
	;;#ASMEND
	;;#ASMSTART
	v_dot2_f32_f16 v109, v112, v24, v109
	;;#ASMEND
	;;#ASMSTART
	v_dot2_f32_f16 v109, v113, v25, v109
	;;#ASMEND
	;;#ASMSTART
	v_dot2_f32_f16 v109, v114, v26, v109
	;;#ASMEND
	;;#ASMSTART
	v_dot2_f32_f16 v109, v115, v27, v109
	;;#ASMEND
	s_wait_dscnt 0x0
	;;#ASMSTART
	v_dot2_f32_f16 v98, v116, v12, v98
	;;#ASMEND
	;;#ASMSTART
	v_dot2_f32_f16 v98, v117, v13, v98
	;;#ASMEND
	;; [unrolled: 3-line block ×16, first 2 shown]
	ds_load_b128 v[8:11], v76 offset:96
	ds_load_b128 v[12:15], v69 offset:480
	;; [unrolled: 1-line block ×8, first 2 shown]
	s_wait_dscnt 0x6
	;;#ASMSTART
	v_dot2_f32_f16 v95, v8, v12, v95
	;;#ASMEND
	;;#ASMSTART
	v_dot2_f32_f16 v95, v9, v13, v95
	;;#ASMEND
	;;#ASMSTART
	v_dot2_f32_f16 v95, v10, v14, v95
	;;#ASMEND
	;;#ASMSTART
	v_dot2_f32_f16 v95, v11, v15, v95
	;;#ASMEND
	s_wait_dscnt 0x5
	;;#ASMSTART
	v_dot2_f32_f16 v103, v8, v16, v103
	;;#ASMEND
	;;#ASMSTART
	v_dot2_f32_f16 v103, v9, v17, v103
	;;#ASMEND
	;;#ASMSTART
	v_dot2_f32_f16 v103, v10, v18, v103
	;;#ASMEND
	;;#ASMSTART
	v_dot2_f32_f16 v103, v11, v19, v103
	;;#ASMEND
	;; [unrolled: 13-line block ×5, first 2 shown]
	;;#ASMSTART
	v_dot2_f32_f16 v104, v28, v16, v104
	;;#ASMEND
	;;#ASMSTART
	v_dot2_f32_f16 v104, v29, v17, v104
	;;#ASMEND
	;; [unrolled: 3-line block ×12, first 2 shown]
	s_wait_dscnt 0x1
	;;#ASMSTART
	v_dot2_f32_f16 v97, v112, v12, v97
	;;#ASMEND
	;;#ASMSTART
	v_dot2_f32_f16 v97, v113, v13, v97
	;;#ASMEND
	;; [unrolled: 3-line block ×16, first 2 shown]
	s_wait_dscnt 0x0
	;;#ASMSTART
	v_dot2_f32_f16 v98, v116, v12, v98
	;;#ASMEND
	;;#ASMSTART
	v_dot2_f32_f16 v98, v117, v13, v98
	;;#ASMEND
	;; [unrolled: 3-line block ×16, first 2 shown]
	ds_load_b128 v[8:11], v76 offset:112
	ds_load_b128 v[12:15], v69 offset:496
	;; [unrolled: 1-line block ×8, first 2 shown]
	s_wait_dscnt 0x6
	;;#ASMSTART
	v_dot2_f32_f16 v95, v8, v12, v95
	;;#ASMEND
	;;#ASMSTART
	v_dot2_f32_f16 v95, v9, v13, v95
	;;#ASMEND
	;;#ASMSTART
	v_dot2_f32_f16 v95, v10, v14, v95
	;;#ASMEND
	;;#ASMSTART
	v_dot2_f32_f16 v95, v11, v15, v95
	;;#ASMEND
	s_wait_dscnt 0x5
	;;#ASMSTART
	v_dot2_f32_f16 v103, v8, v16, v103
	;;#ASMEND
	;;#ASMSTART
	v_dot2_f32_f16 v103, v9, v17, v103
	;;#ASMEND
	;;#ASMSTART
	v_dot2_f32_f16 v103, v10, v18, v103
	;;#ASMEND
	;;#ASMSTART
	v_dot2_f32_f16 v103, v11, v19, v103
	;;#ASMEND
	;; [unrolled: 13-line block ×5, first 2 shown]
	;;#ASMSTART
	v_dot2_f32_f16 v104, v28, v16, v104
	;;#ASMEND
	;;#ASMSTART
	v_dot2_f32_f16 v104, v29, v17, v104
	;;#ASMEND
	;; [unrolled: 3-line block ×12, first 2 shown]
	s_wait_dscnt 0x1
	;;#ASMSTART
	v_dot2_f32_f16 v97, v112, v12, v97
	;;#ASMEND
	;;#ASMSTART
	v_dot2_f32_f16 v97, v113, v13, v97
	;;#ASMEND
	;; [unrolled: 3-line block ×16, first 2 shown]
	s_wait_dscnt 0x0
	;;#ASMSTART
	v_dot2_f32_f16 v98, v116, v12, v98
	;;#ASMEND
	;;#ASMSTART
	v_dot2_f32_f16 v98, v117, v13, v98
	;;#ASMEND
	;;#ASMSTART
	v_dot2_f32_f16 v98, v118, v14, v98
	;;#ASMEND
	;;#ASMSTART
	v_dot2_f32_f16 v98, v119, v15, v98
	;;#ASMEND
	;;#ASMSTART
	v_dot2_f32_f16 v106, v116, v16, v106
	;;#ASMEND
	;;#ASMSTART
	v_dot2_f32_f16 v106, v117, v17, v106
	;;#ASMEND
	;;#ASMSTART
	v_dot2_f32_f16 v106, v118, v18, v106
	;;#ASMEND
	;;#ASMSTART
	v_dot2_f32_f16 v106, v119, v19, v106
	;;#ASMEND
	;;#ASMSTART
	v_dot2_f32_f16 v111, v116, v20, v111
	;;#ASMEND
	;;#ASMSTART
	v_dot2_f32_f16 v111, v117, v21, v111
	;;#ASMEND
	;;#ASMSTART
	v_dot2_f32_f16 v111, v118, v22, v111
	;;#ASMEND
	;;#ASMSTART
	v_dot2_f32_f16 v111, v119, v23, v111
	;;#ASMEND
	;;#ASMSTART
	v_dot2_f32_f16 v110, v116, v24, v110
	;;#ASMEND
	;;#ASMSTART
	v_dot2_f32_f16 v110, v117, v25, v110
	;;#ASMEND
	;;#ASMSTART
	v_dot2_f32_f16 v110, v118, v26, v110
	;;#ASMEND
	;;#ASMSTART
	v_dot2_f32_f16 v110, v119, v27, v110
	;;#ASMEND
	s_barrier_signal -1
	s_barrier_wait -1
	s_clause 0x3
	global_load_b128 v[8:11], v[0:1], off offset:512
	global_load_b128 v[12:15], v[2:3], off offset:512
	;; [unrolled: 1-line block ×4, first 2 shown]
	s_wait_loadcnt 0x3
	ds_store_b128 v72, v[8:11]
	s_wait_loadcnt 0x2
	ds_store_b128 v73, v[12:15]
	;; [unrolled: 2-line block ×4, first 2 shown]
	s_wait_dscnt 0x0
	s_barrier_signal -1
	s_barrier_wait -1
	ds_load_b128 v[0:3], v76
	ds_load_b128 v[4:7], v69 offset:512
	ds_load_b128 v[8:11], v69 offset:1152
	ds_load_b128 v[12:15], v69 offset:1792
	ds_load_b128 v[16:19], v69 offset:2432
	ds_load_b128 v[20:23], v76 offset:4608
	ds_load_b128 v[24:27], v76 offset:9216
	ds_load_b128 v[28:31], v76 offset:13824
	s_wait_dscnt 0x6
	;;#ASMSTART
	v_dot2_f32_f16 v95, v0, v4, v95
	;;#ASMEND
	;;#ASMSTART
	v_dot2_f32_f16 v95, v1, v5, v95
	;;#ASMEND
	;;#ASMSTART
	v_dot2_f32_f16 v95, v2, v6, v95
	;;#ASMEND
	;;#ASMSTART
	v_dot2_f32_f16 v95, v3, v7, v95
	;;#ASMEND
	s_wait_dscnt 0x5
	;;#ASMSTART
	v_dot2_f32_f16 v103, v0, v8, v103
	;;#ASMEND
	;;#ASMSTART
	v_dot2_f32_f16 v103, v1, v9, v103
	;;#ASMEND
	;;#ASMSTART
	v_dot2_f32_f16 v103, v2, v10, v103
	;;#ASMEND
	;;#ASMSTART
	v_dot2_f32_f16 v103, v3, v11, v103
	;;#ASMEND
	;; [unrolled: 13-line block ×5, first 2 shown]
	;;#ASMSTART
	v_dot2_f32_f16 v104, v20, v8, v104
	;;#ASMEND
	;;#ASMSTART
	v_dot2_f32_f16 v104, v21, v9, v104
	;;#ASMEND
	;; [unrolled: 3-line block ×12, first 2 shown]
	s_wait_dscnt 0x1
	;;#ASMSTART
	v_dot2_f32_f16 v97, v24, v4, v97
	;;#ASMEND
	;;#ASMSTART
	v_dot2_f32_f16 v97, v25, v5, v97
	;;#ASMEND
	;; [unrolled: 3-line block ×16, first 2 shown]
	s_wait_dscnt 0x0
	;;#ASMSTART
	v_dot2_f32_f16 v98, v28, v4, v98
	;;#ASMEND
	;;#ASMSTART
	v_dot2_f32_f16 v98, v29, v5, v98
	;;#ASMEND
	;; [unrolled: 3-line block ×16, first 2 shown]
	ds_load_b128 v[0:3], v76 offset:16
	ds_load_b128 v[4:7], v69 offset:528
	;; [unrolled: 1-line block ×8, first 2 shown]
	s_wait_dscnt 0x6
	;;#ASMSTART
	v_dot2_f32_f16 v95, v0, v4, v95
	;;#ASMEND
	;;#ASMSTART
	v_dot2_f32_f16 v95, v1, v5, v95
	;;#ASMEND
	;;#ASMSTART
	v_dot2_f32_f16 v95, v2, v6, v95
	;;#ASMEND
	;;#ASMSTART
	v_dot2_f32_f16 v95, v3, v7, v95
	;;#ASMEND
	s_wait_dscnt 0x5
	;;#ASMSTART
	v_dot2_f32_f16 v103, v0, v8, v103
	;;#ASMEND
	;;#ASMSTART
	v_dot2_f32_f16 v103, v1, v9, v103
	;;#ASMEND
	;;#ASMSTART
	v_dot2_f32_f16 v103, v2, v10, v103
	;;#ASMEND
	;;#ASMSTART
	v_dot2_f32_f16 v103, v3, v11, v103
	;;#ASMEND
	;; [unrolled: 13-line block ×5, first 2 shown]
	;;#ASMSTART
	v_dot2_f32_f16 v104, v20, v8, v104
	;;#ASMEND
	;;#ASMSTART
	v_dot2_f32_f16 v104, v21, v9, v104
	;;#ASMEND
	;; [unrolled: 3-line block ×12, first 2 shown]
	s_wait_dscnt 0x1
	;;#ASMSTART
	v_dot2_f32_f16 v97, v24, v4, v97
	;;#ASMEND
	;;#ASMSTART
	v_dot2_f32_f16 v97, v25, v5, v97
	;;#ASMEND
	;; [unrolled: 3-line block ×16, first 2 shown]
	s_wait_dscnt 0x0
	;;#ASMSTART
	v_dot2_f32_f16 v98, v28, v4, v98
	;;#ASMEND
	;;#ASMSTART
	v_dot2_f32_f16 v98, v29, v5, v98
	;;#ASMEND
	;; [unrolled: 3-line block ×16, first 2 shown]
	ds_load_b128 v[0:3], v76 offset:32
	ds_load_b128 v[4:7], v69 offset:544
	;; [unrolled: 1-line block ×8, first 2 shown]
	s_wait_dscnt 0x6
	;;#ASMSTART
	v_dot2_f32_f16 v95, v0, v4, v95
	;;#ASMEND
	;;#ASMSTART
	v_dot2_f32_f16 v95, v1, v5, v95
	;;#ASMEND
	;;#ASMSTART
	v_dot2_f32_f16 v95, v2, v6, v95
	;;#ASMEND
	;;#ASMSTART
	v_dot2_f32_f16 v95, v3, v7, v95
	;;#ASMEND
	s_wait_dscnt 0x5
	;;#ASMSTART
	v_dot2_f32_f16 v103, v0, v8, v103
	;;#ASMEND
	;;#ASMSTART
	v_dot2_f32_f16 v103, v1, v9, v103
	;;#ASMEND
	;;#ASMSTART
	v_dot2_f32_f16 v103, v2, v10, v103
	;;#ASMEND
	;;#ASMSTART
	v_dot2_f32_f16 v103, v3, v11, v103
	;;#ASMEND
	;; [unrolled: 13-line block ×5, first 2 shown]
	;;#ASMSTART
	v_dot2_f32_f16 v104, v20, v8, v104
	;;#ASMEND
	;;#ASMSTART
	v_dot2_f32_f16 v104, v21, v9, v104
	;;#ASMEND
	;; [unrolled: 3-line block ×12, first 2 shown]
	s_wait_dscnt 0x1
	;;#ASMSTART
	v_dot2_f32_f16 v97, v24, v4, v97
	;;#ASMEND
	;;#ASMSTART
	v_dot2_f32_f16 v97, v25, v5, v97
	;;#ASMEND
	;; [unrolled: 3-line block ×16, first 2 shown]
	s_wait_dscnt 0x0
	;;#ASMSTART
	v_dot2_f32_f16 v98, v28, v4, v98
	;;#ASMEND
	;;#ASMSTART
	v_dot2_f32_f16 v98, v29, v5, v98
	;;#ASMEND
	;; [unrolled: 3-line block ×16, first 2 shown]
	ds_load_b128 v[0:3], v76 offset:48
	ds_load_b128 v[4:7], v69 offset:560
	;; [unrolled: 1-line block ×8, first 2 shown]
	s_wait_dscnt 0x6
	;;#ASMSTART
	v_dot2_f32_f16 v95, v0, v4, v95
	;;#ASMEND
	;;#ASMSTART
	v_dot2_f32_f16 v95, v1, v5, v95
	;;#ASMEND
	;;#ASMSTART
	v_dot2_f32_f16 v95, v2, v6, v95
	;;#ASMEND
	;;#ASMSTART
	v_dot2_f32_f16 v95, v3, v7, v95
	;;#ASMEND
	s_wait_dscnt 0x5
	;;#ASMSTART
	v_dot2_f32_f16 v103, v0, v8, v103
	;;#ASMEND
	;;#ASMSTART
	v_dot2_f32_f16 v103, v1, v9, v103
	;;#ASMEND
	;;#ASMSTART
	v_dot2_f32_f16 v103, v2, v10, v103
	;;#ASMEND
	;;#ASMSTART
	v_dot2_f32_f16 v103, v3, v11, v103
	;;#ASMEND
	;; [unrolled: 13-line block ×5, first 2 shown]
	;;#ASMSTART
	v_dot2_f32_f16 v104, v20, v8, v104
	;;#ASMEND
	;;#ASMSTART
	v_dot2_f32_f16 v104, v21, v9, v104
	;;#ASMEND
	;; [unrolled: 3-line block ×12, first 2 shown]
	s_wait_dscnt 0x1
	;;#ASMSTART
	v_dot2_f32_f16 v97, v24, v4, v97
	;;#ASMEND
	;;#ASMSTART
	v_dot2_f32_f16 v97, v25, v5, v97
	;;#ASMEND
	;; [unrolled: 3-line block ×16, first 2 shown]
	s_wait_dscnt 0x0
	;;#ASMSTART
	v_dot2_f32_f16 v98, v28, v4, v98
	;;#ASMEND
	;;#ASMSTART
	v_dot2_f32_f16 v98, v29, v5, v98
	;;#ASMEND
	;; [unrolled: 3-line block ×16, first 2 shown]
	ds_load_b128 v[0:3], v76 offset:64
	ds_load_b128 v[4:7], v69 offset:576
	;; [unrolled: 1-line block ×8, first 2 shown]
	s_wait_dscnt 0x6
	;;#ASMSTART
	v_dot2_f32_f16 v95, v0, v4, v95
	;;#ASMEND
	;;#ASMSTART
	v_dot2_f32_f16 v95, v1, v5, v95
	;;#ASMEND
	;;#ASMSTART
	v_dot2_f32_f16 v95, v2, v6, v95
	;;#ASMEND
	;;#ASMSTART
	v_dot2_f32_f16 v95, v3, v7, v95
	;;#ASMEND
	s_wait_dscnt 0x5
	;;#ASMSTART
	v_dot2_f32_f16 v103, v0, v8, v103
	;;#ASMEND
	;;#ASMSTART
	v_dot2_f32_f16 v103, v1, v9, v103
	;;#ASMEND
	;;#ASMSTART
	v_dot2_f32_f16 v103, v2, v10, v103
	;;#ASMEND
	;;#ASMSTART
	v_dot2_f32_f16 v103, v3, v11, v103
	;;#ASMEND
	;; [unrolled: 13-line block ×5, first 2 shown]
	;;#ASMSTART
	v_dot2_f32_f16 v104, v20, v8, v104
	;;#ASMEND
	;;#ASMSTART
	v_dot2_f32_f16 v104, v21, v9, v104
	;;#ASMEND
	;; [unrolled: 3-line block ×12, first 2 shown]
	s_wait_dscnt 0x1
	;;#ASMSTART
	v_dot2_f32_f16 v97, v24, v4, v97
	;;#ASMEND
	;;#ASMSTART
	v_dot2_f32_f16 v97, v25, v5, v97
	;;#ASMEND
	;; [unrolled: 3-line block ×16, first 2 shown]
	s_wait_dscnt 0x0
	;;#ASMSTART
	v_dot2_f32_f16 v98, v28, v4, v98
	;;#ASMEND
	;;#ASMSTART
	v_dot2_f32_f16 v98, v29, v5, v98
	;;#ASMEND
	;; [unrolled: 3-line block ×16, first 2 shown]
	ds_load_b128 v[0:3], v76 offset:80
	ds_load_b128 v[4:7], v69 offset:592
	;; [unrolled: 1-line block ×8, first 2 shown]
	s_wait_dscnt 0x6
	;;#ASMSTART
	v_dot2_f32_f16 v95, v0, v4, v95
	;;#ASMEND
	;;#ASMSTART
	v_dot2_f32_f16 v95, v1, v5, v95
	;;#ASMEND
	;;#ASMSTART
	v_dot2_f32_f16 v95, v2, v6, v95
	;;#ASMEND
	;;#ASMSTART
	v_dot2_f32_f16 v95, v3, v7, v95
	;;#ASMEND
	s_wait_dscnt 0x5
	;;#ASMSTART
	v_dot2_f32_f16 v103, v0, v8, v103
	;;#ASMEND
	;;#ASMSTART
	v_dot2_f32_f16 v103, v1, v9, v103
	;;#ASMEND
	;;#ASMSTART
	v_dot2_f32_f16 v103, v2, v10, v103
	;;#ASMEND
	;;#ASMSTART
	v_dot2_f32_f16 v103, v3, v11, v103
	;;#ASMEND
	;; [unrolled: 13-line block ×5, first 2 shown]
	;;#ASMSTART
	v_dot2_f32_f16 v104, v20, v8, v104
	;;#ASMEND
	;;#ASMSTART
	v_dot2_f32_f16 v104, v21, v9, v104
	;;#ASMEND
	;; [unrolled: 3-line block ×12, first 2 shown]
	s_wait_dscnt 0x1
	;;#ASMSTART
	v_dot2_f32_f16 v97, v24, v4, v97
	;;#ASMEND
	;;#ASMSTART
	v_dot2_f32_f16 v97, v25, v5, v97
	;;#ASMEND
	;; [unrolled: 3-line block ×16, first 2 shown]
	s_wait_dscnt 0x0
	;;#ASMSTART
	v_dot2_f32_f16 v98, v28, v4, v98
	;;#ASMEND
	;;#ASMSTART
	v_dot2_f32_f16 v98, v29, v5, v98
	;;#ASMEND
	;; [unrolled: 3-line block ×16, first 2 shown]
	ds_load_b128 v[0:3], v76 offset:96
	ds_load_b128 v[4:7], v69 offset:608
	;; [unrolled: 1-line block ×8, first 2 shown]
	s_wait_dscnt 0x6
	;;#ASMSTART
	v_dot2_f32_f16 v95, v0, v4, v95
	;;#ASMEND
	;;#ASMSTART
	v_dot2_f32_f16 v95, v1, v5, v95
	;;#ASMEND
	;;#ASMSTART
	v_dot2_f32_f16 v95, v2, v6, v95
	;;#ASMEND
	;;#ASMSTART
	v_dot2_f32_f16 v95, v3, v7, v95
	;;#ASMEND
	s_wait_dscnt 0x5
	;;#ASMSTART
	v_dot2_f32_f16 v103, v0, v8, v103
	;;#ASMEND
	;;#ASMSTART
	v_dot2_f32_f16 v103, v1, v9, v103
	;;#ASMEND
	;;#ASMSTART
	v_dot2_f32_f16 v103, v2, v10, v103
	;;#ASMEND
	;;#ASMSTART
	v_dot2_f32_f16 v103, v3, v11, v103
	;;#ASMEND
	;; [unrolled: 13-line block ×5, first 2 shown]
	;;#ASMSTART
	v_dot2_f32_f16 v104, v20, v8, v104
	;;#ASMEND
	;;#ASMSTART
	v_dot2_f32_f16 v104, v21, v9, v104
	;;#ASMEND
	;; [unrolled: 3-line block ×12, first 2 shown]
	s_wait_dscnt 0x1
	;;#ASMSTART
	v_dot2_f32_f16 v97, v24, v4, v97
	;;#ASMEND
	;;#ASMSTART
	v_dot2_f32_f16 v97, v25, v5, v97
	;;#ASMEND
	;; [unrolled: 3-line block ×16, first 2 shown]
	s_wait_dscnt 0x0
	;;#ASMSTART
	v_dot2_f32_f16 v98, v28, v4, v98
	;;#ASMEND
	;;#ASMSTART
	v_dot2_f32_f16 v98, v29, v5, v98
	;;#ASMEND
	;;#ASMSTART
	v_dot2_f32_f16 v98, v30, v6, v98
	;;#ASMEND
	;;#ASMSTART
	v_dot2_f32_f16 v98, v31, v7, v98
	;;#ASMEND
	;;#ASMSTART
	v_dot2_f32_f16 v106, v28, v8, v106
	;;#ASMEND
	;;#ASMSTART
	v_dot2_f32_f16 v106, v29, v9, v106
	;;#ASMEND
	;;#ASMSTART
	v_dot2_f32_f16 v106, v30, v10, v106
	;;#ASMEND
	;;#ASMSTART
	v_dot2_f32_f16 v106, v31, v11, v106
	;;#ASMEND
	;;#ASMSTART
	v_dot2_f32_f16 v111, v28, v12, v111
	;;#ASMEND
	;;#ASMSTART
	v_dot2_f32_f16 v111, v29, v13, v111
	;;#ASMEND
	;;#ASMSTART
	v_dot2_f32_f16 v111, v30, v14, v111
	;;#ASMEND
	;;#ASMSTART
	v_dot2_f32_f16 v111, v31, v15, v111
	;;#ASMEND
	;;#ASMSTART
	v_dot2_f32_f16 v110, v28, v16, v110
	;;#ASMEND
	;;#ASMSTART
	v_dot2_f32_f16 v110, v29, v17, v110
	;;#ASMEND
	;;#ASMSTART
	v_dot2_f32_f16 v110, v30, v18, v110
	;;#ASMEND
	;;#ASMSTART
	v_dot2_f32_f16 v110, v31, v19, v110
	;;#ASMEND
	ds_load_b128 v[20:23], v76 offset:112
	ds_load_b128 v[0:3], v69 offset:624
	;; [unrolled: 1-line block ×8, first 2 shown]
	s_wait_dscnt 0x6
	;;#ASMSTART
	v_dot2_f32_f16 v95, v20, v0, v95
	;;#ASMEND
	;;#ASMSTART
	v_dot2_f32_f16 v95, v21, v1, v95
	;;#ASMEND
	;;#ASMSTART
	v_dot2_f32_f16 v95, v22, v2, v95
	;;#ASMEND
	;;#ASMSTART
	v_dot2_f32_f16 v95, v23, v3, v95
	;;#ASMEND
	s_wait_dscnt 0x5
	;;#ASMSTART
	v_dot2_f32_f16 v103, v20, v4, v103
	;;#ASMEND
	;;#ASMSTART
	v_dot2_f32_f16 v103, v21, v5, v103
	;;#ASMEND
	;;#ASMSTART
	v_dot2_f32_f16 v103, v22, v6, v103
	;;#ASMEND
	;;#ASMSTART
	v_dot2_f32_f16 v103, v23, v7, v103
	;;#ASMEND
	;; [unrolled: 13-line block ×5, first 2 shown]
	;;#ASMSTART
	v_dot2_f32_f16 v104, v28, v4, v104
	;;#ASMEND
	;;#ASMSTART
	v_dot2_f32_f16 v104, v29, v5, v104
	;;#ASMEND
	;; [unrolled: 3-line block ×12, first 2 shown]
	s_wait_dscnt 0x1
	;;#ASMSTART
	v_dot2_f32_f16 v97, v24, v0, v97
	;;#ASMEND
	;;#ASMSTART
	v_dot2_f32_f16 v97, v25, v1, v97
	;;#ASMEND
	;; [unrolled: 3-line block ×16, first 2 shown]
	s_wait_dscnt 0x0
	;;#ASMSTART
	v_dot2_f32_f16 v98, v16, v0, v98
	;;#ASMEND
	;;#ASMSTART
	v_dot2_f32_f16 v98, v17, v1, v98
	;;#ASMEND
	;; [unrolled: 3-line block ×9, first 2 shown]
	v_cmp_ngt_f32_e64 s24, 0x3f200000, |v95|
	;;#ASMSTART
	v_dot2_f32_f16 v111, v17, v9, v111
	;;#ASMEND
	;;#ASMSTART
	v_dot2_f32_f16 v111, v18, v10, v111
	;;#ASMEND
	;; [unrolled: 3-line block ×7, first 2 shown]
                                        ; implicit-def: $vgpr2
	s_and_saveexec_b32 s25, s24
	s_delay_alu instid0(SALU_CYCLE_1)
	s_xor_b32 s24, exec_lo, s25
	s_cbranch_execz .LBB5_19
; %bb.18:                               ;   in Loop: Header=BB5_17 Depth=1
	v_add_f32_e64 v0, |v95|, |v95|
	s_delay_alu instid0(VALU_DEP_1) | instskip(SKIP_1) | instid1(VALU_DEP_2)
	v_mul_f32_e32 v1, 0x3fb8aa3b, v0
	v_cmp_ngt_f32_e32 vcc_lo, 0xc2ce8ed0, v0
	v_rndne_f32_e32 v2, v1
	v_fma_f32 v3, 0x3fb8aa3b, v0, -v1
	s_delay_alu instid0(VALU_DEP_2) | instskip(NEXT) | instid1(VALU_DEP_2)
	v_sub_f32_e32 v1, v1, v2
	v_fmac_f32_e32 v3, 0x32a5705f, v0
	v_cvt_i32_f32_e32 v2, v2
	s_delay_alu instid0(VALU_DEP_2) | instskip(NEXT) | instid1(VALU_DEP_1)
	v_add_f32_e32 v1, v1, v3
	v_exp_f32_e32 v1, v1
	v_nop
	s_delay_alu instid0(TRANS32_DEP_1) | instskip(NEXT) | instid1(VALU_DEP_1)
	v_ldexp_f32 v1, v1, v2
	v_cndmask_b32_e32 v1, 0, v1, vcc_lo
	v_cmp_nlt_f32_e32 vcc_lo, 0x42b17218, v0
	s_delay_alu instid0(VALU_DEP_2) | instskip(NEXT) | instid1(VALU_DEP_1)
	v_cndmask_b32_e32 v0, 0x7f800000, v1, vcc_lo
	v_add_f32_e32 v0, 1.0, v0
	s_delay_alu instid0(VALU_DEP_1) | instskip(SKIP_1) | instid1(TRANS32_DEP_1)
	v_rcp_f32_e32 v0, v0
	v_nop
	v_fma_f32 v2, v0, -2.0, 1.0
.LBB5_19:                               ;   in Loop: Header=BB5_17 Depth=1
	s_and_not1_saveexec_b32 s24, s24
	s_cbranch_execz .LBB5_21
; %bb.20:                               ;   in Loop: Header=BB5_17 Depth=1
	v_mul_f32_e32 v0, v95, v95
	s_delay_alu instid0(VALU_DEP_1) | instskip(NEXT) | instid1(VALU_DEP_1)
	v_fmaak_f32 v1, s3, v0, 0x3ca908c9
	v_fmaak_f32 v1, v0, v1, 0xbd5c1c4e
	s_delay_alu instid0(VALU_DEP_1) | instskip(NEXT) | instid1(VALU_DEP_1)
	v_fmaak_f32 v1, v0, v1, 0x3e088382
	v_fmaak_f32 v1, v0, v1, 0xbeaaaa99
	s_delay_alu instid0(VALU_DEP_1) | instskip(NEXT) | instid1(VALU_DEP_1)
	v_mul_f32_e64 v1, |v95|, v1
	v_fma_f32 v2, v0, v1, |v95|
.LBB5_21:                               ;   in Loop: Header=BB5_17 Depth=1
	s_or_b32 exec_lo, exec_lo, s24
	v_add_nc_u32_e32 v0, s4, v77
	v_cmp_ngt_f32_e64 s24, 0x3f200000, |v96|
                                        ; implicit-def: $vgpr3
	global_load_u16 v4, v0, s[30:31] scale_offset
	s_wait_xcnt 0x0
	s_and_saveexec_b32 s25, s24
	s_delay_alu instid0(SALU_CYCLE_1)
	s_xor_b32 s24, exec_lo, s25
	s_cbranch_execz .LBB5_23
; %bb.22:                               ;   in Loop: Header=BB5_17 Depth=1
	v_add_f32_e64 v1, |v96|, |v96|
	s_delay_alu instid0(VALU_DEP_1) | instskip(SKIP_1) | instid1(VALU_DEP_2)
	v_mul_f32_e32 v3, 0x3fb8aa3b, v1
	v_cmp_ngt_f32_e32 vcc_lo, 0xc2ce8ed0, v1
	v_rndne_f32_e32 v5, v3
	v_fma_f32 v6, 0x3fb8aa3b, v1, -v3
	s_delay_alu instid0(VALU_DEP_2) | instskip(NEXT) | instid1(VALU_DEP_2)
	v_sub_f32_e32 v3, v3, v5
	v_fmac_f32_e32 v6, 0x32a5705f, v1
	v_cvt_i32_f32_e32 v5, v5
	s_delay_alu instid0(VALU_DEP_2) | instskip(NEXT) | instid1(VALU_DEP_1)
	v_add_f32_e32 v3, v3, v6
	v_exp_f32_e32 v3, v3
	v_nop
	s_delay_alu instid0(TRANS32_DEP_1) | instskip(NEXT) | instid1(VALU_DEP_1)
	v_ldexp_f32 v3, v3, v5
	v_cndmask_b32_e32 v3, 0, v3, vcc_lo
	v_cmp_nlt_f32_e32 vcc_lo, 0x42b17218, v1
	s_delay_alu instid0(VALU_DEP_2) | instskip(NEXT) | instid1(VALU_DEP_1)
	v_cndmask_b32_e32 v1, 0x7f800000, v3, vcc_lo
	v_add_f32_e32 v1, 1.0, v1
	s_delay_alu instid0(VALU_DEP_1) | instskip(SKIP_1) | instid1(TRANS32_DEP_1)
	v_rcp_f32_e32 v1, v1
	v_nop
	v_fma_f32 v3, v1, -2.0, 1.0
.LBB5_23:                               ;   in Loop: Header=BB5_17 Depth=1
	s_and_not1_saveexec_b32 s24, s24
	s_cbranch_execz .LBB5_25
; %bb.24:                               ;   in Loop: Header=BB5_17 Depth=1
	v_mul_f32_e32 v1, v96, v96
	s_delay_alu instid0(VALU_DEP_1) | instskip(NEXT) | instid1(VALU_DEP_1)
	v_fmaak_f32 v3, s3, v1, 0x3ca908c9
	v_fmaak_f32 v3, v1, v3, 0xbd5c1c4e
	s_delay_alu instid0(VALU_DEP_1) | instskip(NEXT) | instid1(VALU_DEP_1)
	v_fmaak_f32 v3, v1, v3, 0x3e088382
	v_fmaak_f32 v3, v1, v3, 0xbeaaaa99
	s_delay_alu instid0(VALU_DEP_1) | instskip(NEXT) | instid1(VALU_DEP_1)
	v_mul_f32_e64 v3, |v96|, v3
	v_fma_f32 v3, v1, v3, |v96|
.LBB5_25:                               ;   in Loop: Header=BB5_17 Depth=1
	s_or_b32 exec_lo, exec_lo, s24
	v_ashrrev_i32_e32 v1, 31, v0
	v_cmp_ngt_f32_e64 s24, 0x3f200000, |v97|
                                        ; implicit-def: $vgpr8
	s_delay_alu instid0(VALU_DEP_2) | instskip(SKIP_3) | instid1(SALU_CYCLE_1)
	v_lshl_add_u64 v[0:1], v[0:1], 1, s[30:31]
	global_load_u16 v5, v[0:1], off offset:64
	s_wait_xcnt 0x0
	s_and_saveexec_b32 s25, s24
	s_xor_b32 s24, exec_lo, s25
	s_cbranch_execz .LBB5_27
; %bb.26:                               ;   in Loop: Header=BB5_17 Depth=1
	v_add_f32_e64 v6, |v97|, |v97|
	s_delay_alu instid0(VALU_DEP_1) | instskip(SKIP_1) | instid1(VALU_DEP_2)
	v_mul_f32_e32 v7, 0x3fb8aa3b, v6
	v_cmp_ngt_f32_e32 vcc_lo, 0xc2ce8ed0, v6
	v_rndne_f32_e32 v8, v7
	v_fma_f32 v9, 0x3fb8aa3b, v6, -v7
	s_delay_alu instid0(VALU_DEP_2) | instskip(NEXT) | instid1(VALU_DEP_2)
	v_sub_f32_e32 v7, v7, v8
	v_fmac_f32_e32 v9, 0x32a5705f, v6
	v_cvt_i32_f32_e32 v8, v8
	s_delay_alu instid0(VALU_DEP_2) | instskip(NEXT) | instid1(VALU_DEP_1)
	v_add_f32_e32 v7, v7, v9
	v_exp_f32_e32 v7, v7
	v_nop
	s_delay_alu instid0(TRANS32_DEP_1) | instskip(NEXT) | instid1(VALU_DEP_1)
	v_ldexp_f32 v7, v7, v8
	v_cndmask_b32_e32 v7, 0, v7, vcc_lo
	v_cmp_nlt_f32_e32 vcc_lo, 0x42b17218, v6
	s_delay_alu instid0(VALU_DEP_2) | instskip(NEXT) | instid1(VALU_DEP_1)
	v_cndmask_b32_e32 v6, 0x7f800000, v7, vcc_lo
	v_add_f32_e32 v6, 1.0, v6
	s_delay_alu instid0(VALU_DEP_1) | instskip(SKIP_1) | instid1(TRANS32_DEP_1)
	v_rcp_f32_e32 v6, v6
	v_nop
	v_fma_f32 v8, v6, -2.0, 1.0
.LBB5_27:                               ;   in Loop: Header=BB5_17 Depth=1
	s_and_not1_saveexec_b32 s24, s24
	s_cbranch_execz .LBB5_29
; %bb.28:                               ;   in Loop: Header=BB5_17 Depth=1
	v_mul_f32_e32 v6, v97, v97
	s_delay_alu instid0(VALU_DEP_1) | instskip(NEXT) | instid1(VALU_DEP_1)
	v_fmaak_f32 v7, s3, v6, 0x3ca908c9
	v_fmaak_f32 v7, v6, v7, 0xbd5c1c4e
	s_delay_alu instid0(VALU_DEP_1) | instskip(NEXT) | instid1(VALU_DEP_1)
	v_fmaak_f32 v7, v6, v7, 0x3e088382
	v_fmaak_f32 v7, v6, v7, 0xbeaaaa99
	s_delay_alu instid0(VALU_DEP_1) | instskip(NEXT) | instid1(VALU_DEP_1)
	v_mul_f32_e64 v7, |v97|, v7
	v_fma_f32 v8, v6, v7, |v97|
.LBB5_29:                               ;   in Loop: Header=BB5_17 Depth=1
	s_or_b32 exec_lo, exec_lo, s24
	global_load_u16 v6, v[0:1], off offset:128
	v_cmp_ngt_f32_e64 s24, 0x3f200000, |v98|
                                        ; implicit-def: $vgpr9
	s_wait_xcnt 0x0
	s_and_saveexec_b32 s25, s24
	s_delay_alu instid0(SALU_CYCLE_1)
	s_xor_b32 s24, exec_lo, s25
	s_cbranch_execz .LBB5_31
; %bb.30:                               ;   in Loop: Header=BB5_17 Depth=1
	v_add_f32_e64 v7, |v98|, |v98|
	s_delay_alu instid0(VALU_DEP_1) | instskip(SKIP_1) | instid1(VALU_DEP_2)
	v_mul_f32_e32 v9, 0x3fb8aa3b, v7
	v_cmp_ngt_f32_e32 vcc_lo, 0xc2ce8ed0, v7
	v_rndne_f32_e32 v10, v9
	v_fma_f32 v11, 0x3fb8aa3b, v7, -v9
	s_delay_alu instid0(VALU_DEP_2) | instskip(NEXT) | instid1(VALU_DEP_2)
	v_sub_f32_e32 v9, v9, v10
	v_fmac_f32_e32 v11, 0x32a5705f, v7
	v_cvt_i32_f32_e32 v10, v10
	s_delay_alu instid0(VALU_DEP_2) | instskip(NEXT) | instid1(VALU_DEP_1)
	v_add_f32_e32 v9, v9, v11
	v_exp_f32_e32 v9, v9
	v_nop
	s_delay_alu instid0(TRANS32_DEP_1) | instskip(NEXT) | instid1(VALU_DEP_1)
	v_ldexp_f32 v9, v9, v10
	v_cndmask_b32_e32 v9, 0, v9, vcc_lo
	v_cmp_nlt_f32_e32 vcc_lo, 0x42b17218, v7
	s_delay_alu instid0(VALU_DEP_2) | instskip(NEXT) | instid1(VALU_DEP_1)
	v_cndmask_b32_e32 v7, 0x7f800000, v9, vcc_lo
	v_add_f32_e32 v7, 1.0, v7
	s_delay_alu instid0(VALU_DEP_1) | instskip(SKIP_1) | instid1(TRANS32_DEP_1)
	v_rcp_f32_e32 v7, v7
	v_nop
	v_fma_f32 v9, v7, -2.0, 1.0
.LBB5_31:                               ;   in Loop: Header=BB5_17 Depth=1
	s_and_not1_saveexec_b32 s24, s24
	s_cbranch_execz .LBB5_33
; %bb.32:                               ;   in Loop: Header=BB5_17 Depth=1
	v_mul_f32_e32 v7, v98, v98
	s_delay_alu instid0(VALU_DEP_1) | instskip(NEXT) | instid1(VALU_DEP_1)
	v_fmaak_f32 v9, s3, v7, 0x3ca908c9
	v_fmaak_f32 v9, v7, v9, 0xbd5c1c4e
	s_delay_alu instid0(VALU_DEP_1) | instskip(NEXT) | instid1(VALU_DEP_1)
	v_fmaak_f32 v9, v7, v9, 0x3e088382
	v_fmaak_f32 v9, v7, v9, 0xbeaaaa99
	s_delay_alu instid0(VALU_DEP_1) | instskip(NEXT) | instid1(VALU_DEP_1)
	v_mul_f32_e64 v9, |v98|, v9
	v_fma_f32 v9, v7, v9, |v98|
.LBB5_33:                               ;   in Loop: Header=BB5_17 Depth=1
	s_or_b32 exec_lo, exec_lo, s24
	global_load_u16 v7, v[0:1], off offset:192
	s_wait_xcnt 0x0
	v_bfi_b32 v0, 0x7fffffff, v2, v95
	v_bfi_b32 v1, 0x7fffffff, v3, v96
	;; [unrolled: 1-line block ×3, first 2 shown]
	v_xor_b32_e32 v99, 16, v70
	v_xor_b32_e32 v98, 8, v70
	s_wait_loadcnt 0x3
	s_wait_kmcnt 0x0
	v_fma_mix_f32 v27, s26, v0, v4 op_sel_hi:[0,0,1]
	s_wait_loadcnt 0x2
	v_fma_mix_f32 v26, s26, v1, v5 op_sel_hi:[0,0,1]
	v_bfi_b32 v0, 0x7fffffff, v8, v97
	v_cmp_gt_i32_e32 vcc_lo, 32, v99
	v_xor_b32_e32 v97, 4, v70
	v_xor_b32_e32 v95, 1, v70
	v_add_f32_e32 v3, 0x40051340, v26
	s_wait_loadcnt 0x1
	v_fma_mix_f32 v28, s26, v0, v6 op_sel_hi:[0,0,1]
	v_add_f32_e32 v1, 0x40051340, v27
	v_cndmask_b32_e32 v0, v70, v99, vcc_lo
	v_cmp_gt_i32_e32 vcc_lo, 32, v98
	v_xor_b32_e32 v96, 2, v70
	v_cmp_ngt_f32_e64 s24, 0x3f200000, |v103|
                                        ; implicit-def: $vgpr8
	s_delay_alu instid0(VALU_DEP_4) | instskip(SKIP_4) | instid1(VALU_DEP_3)
	v_lshlrev_b32_e32 v0, 2, v0
	s_wait_loadcnt 0x0
	v_fma_mix_f32 v29, s26, v2, v7 op_sel_hi:[0,0,1]
	v_add_f32_e32 v2, 0x40051340, v28
	v_max3_num_f32 v1, v93, v1, v3
	v_add_f32_e32 v3, 0x40051340, v29
	s_delay_alu instid0(VALU_DEP_1)
	v_max3_num_f32 v1, v1, v2, v3
	v_cndmask_b32_e32 v3, v70, v98, vcc_lo
	v_cmp_gt_i32_e32 vcc_lo, 32, v97
	ds_bpermute_b32 v2, v0, v1
	v_dual_cndmask_b32 v3, v70, v97 :: v_dual_lshlrev_b32 v30, 2, v3
	v_cmp_gt_i32_e32 vcc_lo, 32, v96
	s_delay_alu instid0(VALU_DEP_2) | instskip(SKIP_1) | instid1(VALU_DEP_2)
	v_dual_lshlrev_b32 v25, 2, v3 :: v_dual_cndmask_b32 v3, v70, v96, vcc_lo
	v_cmp_gt_i32_e32 vcc_lo, 32, v95
	v_lshlrev_b32_e32 v24, 2, v3
	v_cndmask_b32_e32 v3, v70, v95, vcc_lo
	s_wait_dscnt 0x0
	s_delay_alu instid0(VALU_DEP_1) | instskip(NEXT) | instid1(VALU_DEP_1)
	v_dual_max_num_f32 v2, v2, v2 :: v_dual_lshlrev_b32 v3, 2, v3
	v_max_num_f32_e32 v1, v1, v2
	ds_bpermute_b32 v2, v30, v1
	s_wait_dscnt 0x0
	v_max_num_f32_e32 v2, v2, v2
	s_delay_alu instid0(VALU_DEP_1) | instskip(SKIP_3) | instid1(VALU_DEP_1)
	v_max_num_f32_e32 v1, v1, v2
	ds_bpermute_b32 v2, v25, v1
	s_wait_dscnt 0x0
	v_max_num_f32_e32 v2, v2, v2
	v_max_num_f32_e32 v1, v1, v2
	ds_bpermute_b32 v2, v24, v1
	s_wait_dscnt 0x0
	v_max_num_f32_e32 v2, v2, v2
	s_delay_alu instid0(VALU_DEP_1) | instskip(SKIP_2) | instid1(SALU_CYCLE_1)
	v_max_num_f32_e32 v1, v1, v2
	ds_bpermute_b32 v2, v3, v1
	s_and_saveexec_b32 s25, s24
	s_xor_b32 s24, exec_lo, s25
	s_cbranch_execz .LBB5_35
; %bb.34:                               ;   in Loop: Header=BB5_17 Depth=1
	v_add_f32_e64 v8, |v103|, |v103|
	s_delay_alu instid0(VALU_DEP_1) | instskip(SKIP_1) | instid1(VALU_DEP_2)
	v_mul_f32_e32 v9, 0x3fb8aa3b, v8
	v_cmp_ngt_f32_e32 vcc_lo, 0xc2ce8ed0, v8
	v_rndne_f32_e32 v10, v9
	v_fma_f32 v11, 0x3fb8aa3b, v8, -v9
	s_delay_alu instid0(VALU_DEP_2) | instskip(NEXT) | instid1(VALU_DEP_2)
	v_sub_f32_e32 v9, v9, v10
	v_fmac_f32_e32 v11, 0x32a5705f, v8
	v_cvt_i32_f32_e32 v10, v10
	s_delay_alu instid0(VALU_DEP_2) | instskip(NEXT) | instid1(VALU_DEP_1)
	v_add_f32_e32 v9, v9, v11
	v_exp_f32_e32 v9, v9
	v_nop
	s_delay_alu instid0(TRANS32_DEP_1) | instskip(NEXT) | instid1(VALU_DEP_1)
	v_ldexp_f32 v9, v9, v10
	v_cndmask_b32_e32 v9, 0, v9, vcc_lo
	v_cmp_nlt_f32_e32 vcc_lo, 0x42b17218, v8
	s_delay_alu instid0(VALU_DEP_2) | instskip(NEXT) | instid1(VALU_DEP_1)
	v_cndmask_b32_e32 v8, 0x7f800000, v9, vcc_lo
	v_add_f32_e32 v8, 1.0, v8
	s_delay_alu instid0(VALU_DEP_1) | instskip(SKIP_1) | instid1(TRANS32_DEP_1)
	v_rcp_f32_e32 v8, v8
	v_nop
	v_fma_f32 v8, v8, -2.0, 1.0
.LBB5_35:                               ;   in Loop: Header=BB5_17 Depth=1
	s_and_not1_saveexec_b32 s24, s24
	s_cbranch_execz .LBB5_37
; %bb.36:                               ;   in Loop: Header=BB5_17 Depth=1
	v_mul_f32_e32 v8, v103, v103
	s_delay_alu instid0(VALU_DEP_1) | instskip(NEXT) | instid1(VALU_DEP_1)
	v_fmaak_f32 v9, s3, v8, 0x3ca908c9
	v_fmaak_f32 v9, v8, v9, 0xbd5c1c4e
	s_delay_alu instid0(VALU_DEP_1) | instskip(NEXT) | instid1(VALU_DEP_1)
	v_fmaak_f32 v9, v8, v9, 0x3e088382
	v_fmaak_f32 v9, v8, v9, 0xbeaaaa99
	s_delay_alu instid0(VALU_DEP_1) | instskip(NEXT) | instid1(VALU_DEP_1)
	v_mul_f32_e64 v9, |v103|, v9
	v_fma_f32 v8, v8, v9, |v103|
.LBB5_37:                               ;   in Loop: Header=BB5_17 Depth=1
	s_or_b32 exec_lo, exec_lo, s24
	v_cmp_ngt_f32_e64 s24, 0x3f200000, |v104|
                                        ; implicit-def: $vgpr9
	s_and_saveexec_b32 s25, s24
	s_delay_alu instid0(SALU_CYCLE_1)
	s_xor_b32 s24, exec_lo, s25
	s_cbranch_execz .LBB5_39
; %bb.38:                               ;   in Loop: Header=BB5_17 Depth=1
	v_add_f32_e64 v9, |v104|, |v104|
	s_delay_alu instid0(VALU_DEP_1) | instskip(SKIP_1) | instid1(VALU_DEP_2)
	v_mul_f32_e32 v10, 0x3fb8aa3b, v9
	v_cmp_ngt_f32_e32 vcc_lo, 0xc2ce8ed0, v9
	v_rndne_f32_e32 v11, v10
	v_fma_f32 v12, 0x3fb8aa3b, v9, -v10
	s_delay_alu instid0(VALU_DEP_2) | instskip(NEXT) | instid1(VALU_DEP_2)
	v_sub_f32_e32 v10, v10, v11
	v_fmac_f32_e32 v12, 0x32a5705f, v9
	v_cvt_i32_f32_e32 v11, v11
	s_delay_alu instid0(VALU_DEP_2) | instskip(NEXT) | instid1(VALU_DEP_1)
	v_add_f32_e32 v10, v10, v12
	v_exp_f32_e32 v10, v10
	v_nop
	s_delay_alu instid0(TRANS32_DEP_1) | instskip(NEXT) | instid1(VALU_DEP_1)
	v_ldexp_f32 v10, v10, v11
	v_cndmask_b32_e32 v10, 0, v10, vcc_lo
	v_cmp_nlt_f32_e32 vcc_lo, 0x42b17218, v9
	s_delay_alu instid0(VALU_DEP_2) | instskip(NEXT) | instid1(VALU_DEP_1)
	v_cndmask_b32_e32 v9, 0x7f800000, v10, vcc_lo
	v_add_f32_e32 v9, 1.0, v9
	s_delay_alu instid0(VALU_DEP_1) | instskip(SKIP_1) | instid1(TRANS32_DEP_1)
	v_rcp_f32_e32 v9, v9
	v_nop
	v_fma_f32 v9, v9, -2.0, 1.0
.LBB5_39:                               ;   in Loop: Header=BB5_17 Depth=1
	s_and_not1_saveexec_b32 s24, s24
	s_cbranch_execz .LBB5_41
; %bb.40:                               ;   in Loop: Header=BB5_17 Depth=1
	v_mul_f32_e32 v9, v104, v104
	s_delay_alu instid0(VALU_DEP_1) | instskip(NEXT) | instid1(VALU_DEP_1)
	v_fmaak_f32 v10, s3, v9, 0x3ca908c9
	v_fmaak_f32 v10, v9, v10, 0xbd5c1c4e
	s_delay_alu instid0(VALU_DEP_1) | instskip(NEXT) | instid1(VALU_DEP_1)
	v_fmaak_f32 v10, v9, v10, 0x3e088382
	v_fmaak_f32 v10, v9, v10, 0xbeaaaa99
	s_delay_alu instid0(VALU_DEP_1) | instskip(NEXT) | instid1(VALU_DEP_1)
	v_mul_f32_e64 v10, |v104|, v10
	v_fma_f32 v9, v9, v10, |v104|
.LBB5_41:                               ;   in Loop: Header=BB5_17 Depth=1
	s_or_b32 exec_lo, exec_lo, s24
	v_cmp_ngt_f32_e64 s24, 0x3f200000, |v105|
                                        ; implicit-def: $vgpr10
	s_and_saveexec_b32 s25, s24
	s_delay_alu instid0(SALU_CYCLE_1)
	s_xor_b32 s24, exec_lo, s25
	s_cbranch_execz .LBB5_43
; %bb.42:                               ;   in Loop: Header=BB5_17 Depth=1
	v_add_f32_e64 v10, |v105|, |v105|
	s_delay_alu instid0(VALU_DEP_1) | instskip(SKIP_1) | instid1(VALU_DEP_2)
	v_mul_f32_e32 v11, 0x3fb8aa3b, v10
	v_cmp_ngt_f32_e32 vcc_lo, 0xc2ce8ed0, v10
	v_rndne_f32_e32 v12, v11
	v_fma_f32 v13, 0x3fb8aa3b, v10, -v11
	s_delay_alu instid0(VALU_DEP_2) | instskip(NEXT) | instid1(VALU_DEP_2)
	v_sub_f32_e32 v11, v11, v12
	v_fmac_f32_e32 v13, 0x32a5705f, v10
	v_cvt_i32_f32_e32 v12, v12
	s_delay_alu instid0(VALU_DEP_2) | instskip(NEXT) | instid1(VALU_DEP_1)
	v_add_f32_e32 v11, v11, v13
	v_exp_f32_e32 v11, v11
	v_nop
	s_delay_alu instid0(TRANS32_DEP_1) | instskip(NEXT) | instid1(VALU_DEP_1)
	v_ldexp_f32 v11, v11, v12
	v_cndmask_b32_e32 v11, 0, v11, vcc_lo
	v_cmp_nlt_f32_e32 vcc_lo, 0x42b17218, v10
	s_delay_alu instid0(VALU_DEP_2) | instskip(NEXT) | instid1(VALU_DEP_1)
	v_cndmask_b32_e32 v10, 0x7f800000, v11, vcc_lo
	v_add_f32_e32 v10, 1.0, v10
	s_delay_alu instid0(VALU_DEP_1) | instskip(SKIP_1) | instid1(TRANS32_DEP_1)
	v_rcp_f32_e32 v10, v10
	v_nop
	v_fma_f32 v10, v10, -2.0, 1.0
.LBB5_43:                               ;   in Loop: Header=BB5_17 Depth=1
	s_and_not1_saveexec_b32 s24, s24
	s_cbranch_execz .LBB5_45
; %bb.44:                               ;   in Loop: Header=BB5_17 Depth=1
	v_mul_f32_e32 v10, v105, v105
	s_delay_alu instid0(VALU_DEP_1) | instskip(NEXT) | instid1(VALU_DEP_1)
	v_fmaak_f32 v11, s3, v10, 0x3ca908c9
	v_fmaak_f32 v11, v10, v11, 0xbd5c1c4e
	s_delay_alu instid0(VALU_DEP_1) | instskip(NEXT) | instid1(VALU_DEP_1)
	v_fmaak_f32 v11, v10, v11, 0x3e088382
	v_fmaak_f32 v11, v10, v11, 0xbeaaaa99
	s_delay_alu instid0(VALU_DEP_1) | instskip(NEXT) | instid1(VALU_DEP_1)
	v_mul_f32_e64 v11, |v105|, v11
	v_fma_f32 v10, v10, v11, |v105|
.LBB5_45:                               ;   in Loop: Header=BB5_17 Depth=1
	s_or_b32 exec_lo, exec_lo, s24
	v_cmp_ngt_f32_e64 s24, 0x3f200000, |v106|
                                        ; implicit-def: $vgpr11
	s_and_saveexec_b32 s25, s24
	s_delay_alu instid0(SALU_CYCLE_1)
	s_xor_b32 s24, exec_lo, s25
	s_cbranch_execz .LBB5_47
; %bb.46:                               ;   in Loop: Header=BB5_17 Depth=1
	v_add_f32_e64 v11, |v106|, |v106|
	s_delay_alu instid0(VALU_DEP_1) | instskip(SKIP_1) | instid1(VALU_DEP_2)
	v_mul_f32_e32 v12, 0x3fb8aa3b, v11
	v_cmp_ngt_f32_e32 vcc_lo, 0xc2ce8ed0, v11
	v_rndne_f32_e32 v13, v12
	v_fma_f32 v14, 0x3fb8aa3b, v11, -v12
	s_delay_alu instid0(VALU_DEP_2) | instskip(NEXT) | instid1(VALU_DEP_2)
	v_sub_f32_e32 v12, v12, v13
	v_fmac_f32_e32 v14, 0x32a5705f, v11
	v_cvt_i32_f32_e32 v13, v13
	s_delay_alu instid0(VALU_DEP_2) | instskip(NEXT) | instid1(VALU_DEP_1)
	v_add_f32_e32 v12, v12, v14
	v_exp_f32_e32 v12, v12
	v_nop
	s_delay_alu instid0(TRANS32_DEP_1) | instskip(NEXT) | instid1(VALU_DEP_1)
	v_ldexp_f32 v12, v12, v13
	v_cndmask_b32_e32 v12, 0, v12, vcc_lo
	v_cmp_nlt_f32_e32 vcc_lo, 0x42b17218, v11
	s_delay_alu instid0(VALU_DEP_2) | instskip(NEXT) | instid1(VALU_DEP_1)
	v_cndmask_b32_e32 v11, 0x7f800000, v12, vcc_lo
	v_add_f32_e32 v11, 1.0, v11
	s_delay_alu instid0(VALU_DEP_1) | instskip(SKIP_1) | instid1(TRANS32_DEP_1)
	v_rcp_f32_e32 v11, v11
	v_nop
	v_fma_f32 v11, v11, -2.0, 1.0
.LBB5_47:                               ;   in Loop: Header=BB5_17 Depth=1
	s_and_not1_saveexec_b32 s24, s24
	s_cbranch_execz .LBB5_49
; %bb.48:                               ;   in Loop: Header=BB5_17 Depth=1
	v_mul_f32_e32 v11, v106, v106
	s_delay_alu instid0(VALU_DEP_1) | instskip(NEXT) | instid1(VALU_DEP_1)
	v_fmaak_f32 v12, s3, v11, 0x3ca908c9
	v_fmaak_f32 v12, v11, v12, 0xbd5c1c4e
	s_delay_alu instid0(VALU_DEP_1) | instskip(NEXT) | instid1(VALU_DEP_1)
	v_fmaak_f32 v12, v11, v12, 0x3e088382
	v_fmaak_f32 v12, v11, v12, 0xbeaaaa99
	s_delay_alu instid0(VALU_DEP_1) | instskip(NEXT) | instid1(VALU_DEP_1)
	v_mul_f32_e64 v12, |v106|, v12
	v_fma_f32 v11, v11, v12, |v106|
.LBB5_49:                               ;   in Loop: Header=BB5_17 Depth=1
	s_or_b32 exec_lo, exec_lo, s24
	v_cvt_f32_f16_e32 v23, v4
	v_bfi_b32 v4, 0x7fffffff, v8, v103
	v_cvt_f32_f16_e32 v22, v5
	v_bfi_b32 v5, 0x7fffffff, v9, v104
	v_cvt_f32_f16_e32 v21, v6
	v_cvt_f32_f16_e32 v20, v7
	v_fma_f32 v103, s26, v4, v23
	v_bfi_b32 v4, 0x7fffffff, v10, v105
	v_fma_f32 v104, s26, v5, v22
	v_bfi_b32 v5, 0x7fffffff, v11, v106
	v_cmp_ngt_f32_e64 s24, 0x3f200000, |v100|
	s_delay_alu instid0(VALU_DEP_4) | instskip(NEXT) | instid1(VALU_DEP_4)
	v_fma_f32 v105, s26, v4, v21
	v_add_f32_e32 v4, 0x40051340, v104
	s_delay_alu instid0(VALU_DEP_4) | instskip(NEXT) | instid1(VALU_DEP_3)
	v_fma_f32 v106, s26, v5, v20
	v_dual_add_f32 v6, 0x40051340, v103 :: v_dual_add_f32 v5, 0x40051340, v105
	s_delay_alu instid0(VALU_DEP_1) | instskip(NEXT) | instid1(VALU_DEP_3)
	v_max3_num_f32 v4, v94, v6, v4
	v_add_f32_e32 v6, 0x40051340, v106
	s_delay_alu instid0(VALU_DEP_1) | instskip(SKIP_3) | instid1(VALU_DEP_1)
	v_max3_num_f32 v4, v4, v5, v6
                                        ; implicit-def: $vgpr6
	ds_bpermute_b32 v5, v0, v4
	s_wait_dscnt 0x0
	v_max_num_f32_e32 v5, v5, v5
	v_max_num_f32_e32 v4, v4, v5
	ds_bpermute_b32 v5, v30, v4
	s_wait_dscnt 0x0
	v_max_num_f32_e32 v5, v5, v5
	s_delay_alu instid0(VALU_DEP_1) | instskip(SKIP_3) | instid1(VALU_DEP_1)
	v_max_num_f32_e32 v4, v4, v5
	ds_bpermute_b32 v5, v25, v4
	s_wait_dscnt 0x0
	v_max_num_f32_e32 v5, v5, v5
	v_max_num_f32_e32 v4, v4, v5
	ds_bpermute_b32 v5, v24, v4
	s_wait_dscnt 0x0
	v_max_num_f32_e32 v5, v5, v5
	s_delay_alu instid0(VALU_DEP_1) | instskip(SKIP_2) | instid1(SALU_CYCLE_1)
	v_max_num_f32_e32 v4, v4, v5
	ds_bpermute_b32 v5, v3, v4
	s_and_saveexec_b32 s25, s24
	s_xor_b32 s24, exec_lo, s25
	s_cbranch_execz .LBB5_51
; %bb.50:                               ;   in Loop: Header=BB5_17 Depth=1
	v_add_f32_e64 v6, |v100|, |v100|
	s_delay_alu instid0(VALU_DEP_1) | instskip(SKIP_1) | instid1(VALU_DEP_2)
	v_mul_f32_e32 v7, 0x3fb8aa3b, v6
	v_cmp_ngt_f32_e32 vcc_lo, 0xc2ce8ed0, v6
	v_rndne_f32_e32 v8, v7
	v_fma_f32 v9, 0x3fb8aa3b, v6, -v7
	s_delay_alu instid0(VALU_DEP_2) | instskip(NEXT) | instid1(VALU_DEP_2)
	v_sub_f32_e32 v7, v7, v8
	v_fmac_f32_e32 v9, 0x32a5705f, v6
	v_cvt_i32_f32_e32 v8, v8
	s_delay_alu instid0(VALU_DEP_2) | instskip(NEXT) | instid1(VALU_DEP_1)
	v_add_f32_e32 v7, v7, v9
	v_exp_f32_e32 v7, v7
	v_nop
	s_delay_alu instid0(TRANS32_DEP_1) | instskip(NEXT) | instid1(VALU_DEP_1)
	v_ldexp_f32 v7, v7, v8
	v_cndmask_b32_e32 v7, 0, v7, vcc_lo
	v_cmp_nlt_f32_e32 vcc_lo, 0x42b17218, v6
	s_delay_alu instid0(VALU_DEP_2) | instskip(NEXT) | instid1(VALU_DEP_1)
	v_cndmask_b32_e32 v6, 0x7f800000, v7, vcc_lo
	v_add_f32_e32 v6, 1.0, v6
	s_delay_alu instid0(VALU_DEP_1) | instskip(SKIP_1) | instid1(TRANS32_DEP_1)
	v_rcp_f32_e32 v6, v6
	v_nop
	v_fma_f32 v6, v6, -2.0, 1.0
.LBB5_51:                               ;   in Loop: Header=BB5_17 Depth=1
	s_and_not1_saveexec_b32 s24, s24
	s_cbranch_execz .LBB5_53
; %bb.52:                               ;   in Loop: Header=BB5_17 Depth=1
	v_mul_f32_e32 v6, v100, v100
	s_delay_alu instid0(VALU_DEP_1) | instskip(NEXT) | instid1(VALU_DEP_1)
	v_fmaak_f32 v7, s3, v6, 0x3ca908c9
	v_fmaak_f32 v7, v6, v7, 0xbd5c1c4e
	s_delay_alu instid0(VALU_DEP_1) | instskip(NEXT) | instid1(VALU_DEP_1)
	v_fmaak_f32 v7, v6, v7, 0x3e088382
	v_fmaak_f32 v7, v6, v7, 0xbeaaaa99
	s_delay_alu instid0(VALU_DEP_1) | instskip(NEXT) | instid1(VALU_DEP_1)
	v_mul_f32_e64 v7, |v100|, v7
	v_fma_f32 v6, v6, v7, |v100|
.LBB5_53:                               ;   in Loop: Header=BB5_17 Depth=1
	s_or_b32 exec_lo, exec_lo, s24
	v_cmp_ngt_f32_e64 s24, 0x3f200000, |v101|
                                        ; implicit-def: $vgpr7
	s_and_saveexec_b32 s25, s24
	s_delay_alu instid0(SALU_CYCLE_1)
	s_xor_b32 s24, exec_lo, s25
	s_cbranch_execz .LBB5_55
; %bb.54:                               ;   in Loop: Header=BB5_17 Depth=1
	v_add_f32_e64 v7, |v101|, |v101|
	s_delay_alu instid0(VALU_DEP_1) | instskip(SKIP_1) | instid1(VALU_DEP_2)
	v_mul_f32_e32 v8, 0x3fb8aa3b, v7
	v_cmp_ngt_f32_e32 vcc_lo, 0xc2ce8ed0, v7
	v_rndne_f32_e32 v9, v8
	v_fma_f32 v10, 0x3fb8aa3b, v7, -v8
	s_delay_alu instid0(VALU_DEP_2) | instskip(NEXT) | instid1(VALU_DEP_2)
	v_sub_f32_e32 v8, v8, v9
	v_fmac_f32_e32 v10, 0x32a5705f, v7
	v_cvt_i32_f32_e32 v9, v9
	s_delay_alu instid0(VALU_DEP_2) | instskip(NEXT) | instid1(VALU_DEP_1)
	v_add_f32_e32 v8, v8, v10
	v_exp_f32_e32 v8, v8
	v_nop
	s_delay_alu instid0(TRANS32_DEP_1) | instskip(NEXT) | instid1(VALU_DEP_1)
	v_ldexp_f32 v8, v8, v9
	v_cndmask_b32_e32 v8, 0, v8, vcc_lo
	v_cmp_nlt_f32_e32 vcc_lo, 0x42b17218, v7
	s_delay_alu instid0(VALU_DEP_2) | instskip(NEXT) | instid1(VALU_DEP_1)
	v_cndmask_b32_e32 v7, 0x7f800000, v8, vcc_lo
	v_add_f32_e32 v7, 1.0, v7
	s_delay_alu instid0(VALU_DEP_1) | instskip(SKIP_1) | instid1(TRANS32_DEP_1)
	v_rcp_f32_e32 v7, v7
	v_nop
	v_fma_f32 v7, v7, -2.0, 1.0
.LBB5_55:                               ;   in Loop: Header=BB5_17 Depth=1
	s_and_not1_saveexec_b32 s24, s24
	s_cbranch_execz .LBB5_57
; %bb.56:                               ;   in Loop: Header=BB5_17 Depth=1
	v_mul_f32_e32 v7, v101, v101
	s_delay_alu instid0(VALU_DEP_1) | instskip(NEXT) | instid1(VALU_DEP_1)
	v_fmaak_f32 v8, s3, v7, 0x3ca908c9
	v_fmaak_f32 v8, v7, v8, 0xbd5c1c4e
	s_delay_alu instid0(VALU_DEP_1) | instskip(NEXT) | instid1(VALU_DEP_1)
	v_fmaak_f32 v8, v7, v8, 0x3e088382
	v_fmaak_f32 v8, v7, v8, 0xbeaaaa99
	s_delay_alu instid0(VALU_DEP_1) | instskip(NEXT) | instid1(VALU_DEP_1)
	v_mul_f32_e64 v8, |v101|, v8
	v_fma_f32 v7, v7, v8, |v101|
.LBB5_57:                               ;   in Loop: Header=BB5_17 Depth=1
	s_or_b32 exec_lo, exec_lo, s24
	v_cmp_ngt_f32_e64 s24, 0x3f200000, |v102|
                                        ; implicit-def: $vgpr8
	s_and_saveexec_b32 s25, s24
	s_delay_alu instid0(SALU_CYCLE_1)
	s_xor_b32 s24, exec_lo, s25
	s_cbranch_execz .LBB5_59
; %bb.58:                               ;   in Loop: Header=BB5_17 Depth=1
	v_add_f32_e64 v8, |v102|, |v102|
	s_delay_alu instid0(VALU_DEP_1) | instskip(SKIP_1) | instid1(VALU_DEP_2)
	v_mul_f32_e32 v9, 0x3fb8aa3b, v8
	v_cmp_ngt_f32_e32 vcc_lo, 0xc2ce8ed0, v8
	v_rndne_f32_e32 v10, v9
	v_fma_f32 v11, 0x3fb8aa3b, v8, -v9
	s_delay_alu instid0(VALU_DEP_2) | instskip(NEXT) | instid1(VALU_DEP_2)
	v_sub_f32_e32 v9, v9, v10
	v_fmac_f32_e32 v11, 0x32a5705f, v8
	v_cvt_i32_f32_e32 v10, v10
	s_delay_alu instid0(VALU_DEP_2) | instskip(NEXT) | instid1(VALU_DEP_1)
	v_add_f32_e32 v9, v9, v11
	v_exp_f32_e32 v9, v9
	v_nop
	s_delay_alu instid0(TRANS32_DEP_1) | instskip(NEXT) | instid1(VALU_DEP_1)
	v_ldexp_f32 v9, v9, v10
	v_cndmask_b32_e32 v9, 0, v9, vcc_lo
	v_cmp_nlt_f32_e32 vcc_lo, 0x42b17218, v8
	s_delay_alu instid0(VALU_DEP_2) | instskip(NEXT) | instid1(VALU_DEP_1)
	v_cndmask_b32_e32 v8, 0x7f800000, v9, vcc_lo
	v_add_f32_e32 v8, 1.0, v8
	s_delay_alu instid0(VALU_DEP_1) | instskip(SKIP_1) | instid1(TRANS32_DEP_1)
	v_rcp_f32_e32 v8, v8
	v_nop
	v_fma_f32 v8, v8, -2.0, 1.0
.LBB5_59:                               ;   in Loop: Header=BB5_17 Depth=1
	s_and_not1_saveexec_b32 s24, s24
	s_cbranch_execz .LBB5_61
; %bb.60:                               ;   in Loop: Header=BB5_17 Depth=1
	v_mul_f32_e32 v8, v102, v102
	s_delay_alu instid0(VALU_DEP_1) | instskip(NEXT) | instid1(VALU_DEP_1)
	v_fmaak_f32 v9, s3, v8, 0x3ca908c9
	v_fmaak_f32 v9, v8, v9, 0xbd5c1c4e
	s_delay_alu instid0(VALU_DEP_1) | instskip(NEXT) | instid1(VALU_DEP_1)
	v_fmaak_f32 v9, v8, v9, 0x3e088382
	v_fmaak_f32 v9, v8, v9, 0xbeaaaa99
	s_delay_alu instid0(VALU_DEP_1) | instskip(NEXT) | instid1(VALU_DEP_1)
	v_mul_f32_e64 v9, |v102|, v9
	v_fma_f32 v8, v8, v9, |v102|
.LBB5_61:                               ;   in Loop: Header=BB5_17 Depth=1
	s_or_b32 exec_lo, exec_lo, s24
	v_cmp_ngt_f32_e64 s24, 0x3f200000, |v111|
                                        ; implicit-def: $vgpr9
	s_and_saveexec_b32 s25, s24
	s_delay_alu instid0(SALU_CYCLE_1)
	s_xor_b32 s24, exec_lo, s25
	s_cbranch_execz .LBB5_63
; %bb.62:                               ;   in Loop: Header=BB5_17 Depth=1
	v_add_f32_e64 v9, |v111|, |v111|
	s_delay_alu instid0(VALU_DEP_1) | instskip(SKIP_1) | instid1(VALU_DEP_2)
	v_mul_f32_e32 v10, 0x3fb8aa3b, v9
	v_cmp_ngt_f32_e32 vcc_lo, 0xc2ce8ed0, v9
	v_rndne_f32_e32 v11, v10
	v_fma_f32 v12, 0x3fb8aa3b, v9, -v10
	s_delay_alu instid0(VALU_DEP_2) | instskip(NEXT) | instid1(VALU_DEP_2)
	v_sub_f32_e32 v10, v10, v11
	v_fmac_f32_e32 v12, 0x32a5705f, v9
	v_cvt_i32_f32_e32 v11, v11
	s_delay_alu instid0(VALU_DEP_2) | instskip(NEXT) | instid1(VALU_DEP_1)
	v_add_f32_e32 v10, v10, v12
	v_exp_f32_e32 v10, v10
	v_nop
	s_delay_alu instid0(TRANS32_DEP_1) | instskip(NEXT) | instid1(VALU_DEP_1)
	v_ldexp_f32 v10, v10, v11
	v_cndmask_b32_e32 v10, 0, v10, vcc_lo
	v_cmp_nlt_f32_e32 vcc_lo, 0x42b17218, v9
	s_delay_alu instid0(VALU_DEP_2) | instskip(NEXT) | instid1(VALU_DEP_1)
	v_cndmask_b32_e32 v9, 0x7f800000, v10, vcc_lo
	v_add_f32_e32 v9, 1.0, v9
	s_delay_alu instid0(VALU_DEP_1) | instskip(SKIP_1) | instid1(TRANS32_DEP_1)
	v_rcp_f32_e32 v9, v9
	v_nop
	v_fma_f32 v9, v9, -2.0, 1.0
.LBB5_63:                               ;   in Loop: Header=BB5_17 Depth=1
	s_and_not1_saveexec_b32 s24, s24
	s_cbranch_execz .LBB5_65
; %bb.64:                               ;   in Loop: Header=BB5_17 Depth=1
	v_mul_f32_e32 v9, v111, v111
	s_delay_alu instid0(VALU_DEP_1) | instskip(NEXT) | instid1(VALU_DEP_1)
	v_fmaak_f32 v10, s3, v9, 0x3ca908c9
	v_fmaak_f32 v10, v9, v10, 0xbd5c1c4e
	s_delay_alu instid0(VALU_DEP_1) | instskip(NEXT) | instid1(VALU_DEP_1)
	v_fmaak_f32 v10, v9, v10, 0x3e088382
	v_fmaak_f32 v10, v9, v10, 0xbeaaaa99
	s_delay_alu instid0(VALU_DEP_1) | instskip(NEXT) | instid1(VALU_DEP_1)
	v_mul_f32_e64 v10, |v111|, v10
	v_fma_f32 v9, v9, v10, |v111|
.LBB5_65:                               ;   in Loop: Header=BB5_17 Depth=1
	s_or_b32 exec_lo, exec_lo, s24
	v_bfi_b32 v6, 0x7fffffff, v6, v100
	v_bfi_b32 v7, 0x7fffffff, v7, v101
	;; [unrolled: 1-line block ×3, first 2 shown]
	v_cmp_ngt_f32_e64 s24, 0x3f200000, |v107|
	s_delay_alu instid0(VALU_DEP_3) | instskip(SKIP_1) | instid1(VALU_DEP_4)
	v_dual_fma_f32 v102, s26, v6, v23 :: v_dual_fma_f32 v101, s26, v7, v22
	v_bfi_b32 v6, 0x7fffffff, v9, v111
	v_fma_f32 v31, s26, v8, v21
	s_delay_alu instid0(VALU_DEP_3) | instskip(NEXT) | instid1(VALU_DEP_3)
	v_dual_add_f32 v7, 0x40051340, v102 :: v_dual_add_f32 v8, 0x40051340, v101
	v_fma_f32 v100, s26, v6, v20
	s_delay_alu instid0(VALU_DEP_3) | instskip(NEXT) | instid1(VALU_DEP_3)
	v_add_f32_e32 v6, 0x40051340, v31
	v_max3_num_f32 v7, v60, v7, v8
	s_delay_alu instid0(VALU_DEP_3) | instskip(NEXT) | instid1(VALU_DEP_1)
	v_add_f32_e32 v8, 0x40051340, v100
	v_max3_num_f32 v6, v7, v6, v8
                                        ; implicit-def: $vgpr8
	ds_bpermute_b32 v7, v0, v6
	s_wait_dscnt 0x0
	v_max_num_f32_e32 v7, v7, v7
	s_delay_alu instid0(VALU_DEP_1) | instskip(SKIP_3) | instid1(VALU_DEP_1)
	v_max_num_f32_e32 v6, v6, v7
	ds_bpermute_b32 v7, v30, v6
	s_wait_dscnt 0x0
	v_max_num_f32_e32 v7, v7, v7
	v_max_num_f32_e32 v6, v6, v7
	ds_bpermute_b32 v7, v25, v6
	s_wait_dscnt 0x0
	v_max_num_f32_e32 v7, v7, v7
	s_delay_alu instid0(VALU_DEP_1) | instskip(SKIP_3) | instid1(VALU_DEP_1)
	v_max_num_f32_e32 v6, v6, v7
	ds_bpermute_b32 v7, v24, v6
	s_wait_dscnt 0x0
	v_max_num_f32_e32 v7, v7, v7
	v_max_num_f32_e32 v6, v6, v7
	ds_bpermute_b32 v7, v3, v6
	s_and_saveexec_b32 s25, s24
	s_delay_alu instid0(SALU_CYCLE_1)
	s_xor_b32 s24, exec_lo, s25
	s_cbranch_execz .LBB5_67
; %bb.66:                               ;   in Loop: Header=BB5_17 Depth=1
	v_add_f32_e64 v8, |v107|, |v107|
	s_delay_alu instid0(VALU_DEP_1) | instskip(SKIP_1) | instid1(VALU_DEP_2)
	v_mul_f32_e32 v9, 0x3fb8aa3b, v8
	v_cmp_ngt_f32_e32 vcc_lo, 0xc2ce8ed0, v8
	v_rndne_f32_e32 v10, v9
	v_fma_f32 v11, 0x3fb8aa3b, v8, -v9
	s_delay_alu instid0(VALU_DEP_2) | instskip(NEXT) | instid1(VALU_DEP_2)
	v_sub_f32_e32 v9, v9, v10
	v_fmac_f32_e32 v11, 0x32a5705f, v8
	v_cvt_i32_f32_e32 v10, v10
	s_delay_alu instid0(VALU_DEP_2) | instskip(NEXT) | instid1(VALU_DEP_1)
	v_add_f32_e32 v9, v9, v11
	v_exp_f32_e32 v9, v9
	v_nop
	s_delay_alu instid0(TRANS32_DEP_1) | instskip(NEXT) | instid1(VALU_DEP_1)
	v_ldexp_f32 v9, v9, v10
	v_cndmask_b32_e32 v9, 0, v9, vcc_lo
	v_cmp_nlt_f32_e32 vcc_lo, 0x42b17218, v8
	s_delay_alu instid0(VALU_DEP_2) | instskip(NEXT) | instid1(VALU_DEP_1)
	v_cndmask_b32_e32 v8, 0x7f800000, v9, vcc_lo
	v_add_f32_e32 v8, 1.0, v8
	s_delay_alu instid0(VALU_DEP_1) | instskip(SKIP_1) | instid1(TRANS32_DEP_1)
	v_rcp_f32_e32 v8, v8
	v_nop
	v_fma_f32 v8, v8, -2.0, 1.0
.LBB5_67:                               ;   in Loop: Header=BB5_17 Depth=1
	s_and_not1_saveexec_b32 s24, s24
	s_cbranch_execz .LBB5_69
; %bb.68:                               ;   in Loop: Header=BB5_17 Depth=1
	v_mul_f32_e32 v8, v107, v107
	s_delay_alu instid0(VALU_DEP_1) | instskip(NEXT) | instid1(VALU_DEP_1)
	v_fmaak_f32 v9, s3, v8, 0x3ca908c9
	v_fmaak_f32 v9, v8, v9, 0xbd5c1c4e
	s_delay_alu instid0(VALU_DEP_1) | instskip(NEXT) | instid1(VALU_DEP_1)
	v_fmaak_f32 v9, v8, v9, 0x3e088382
	v_fmaak_f32 v9, v8, v9, 0xbeaaaa99
	s_delay_alu instid0(VALU_DEP_1) | instskip(NEXT) | instid1(VALU_DEP_1)
	v_mul_f32_e64 v9, |v107|, v9
	v_fma_f32 v8, v8, v9, |v107|
.LBB5_69:                               ;   in Loop: Header=BB5_17 Depth=1
	s_or_b32 exec_lo, exec_lo, s24
	v_cmp_ngt_f32_e64 s24, 0x3f200000, |v108|
                                        ; implicit-def: $vgpr9
	s_and_saveexec_b32 s25, s24
	s_delay_alu instid0(SALU_CYCLE_1)
	s_xor_b32 s24, exec_lo, s25
	s_cbranch_execz .LBB5_71
; %bb.70:                               ;   in Loop: Header=BB5_17 Depth=1
	v_add_f32_e64 v9, |v108|, |v108|
	s_delay_alu instid0(VALU_DEP_1) | instskip(SKIP_1) | instid1(VALU_DEP_2)
	v_mul_f32_e32 v10, 0x3fb8aa3b, v9
	v_cmp_ngt_f32_e32 vcc_lo, 0xc2ce8ed0, v9
	v_rndne_f32_e32 v11, v10
	v_fma_f32 v12, 0x3fb8aa3b, v9, -v10
	s_delay_alu instid0(VALU_DEP_2) | instskip(NEXT) | instid1(VALU_DEP_2)
	v_sub_f32_e32 v10, v10, v11
	v_fmac_f32_e32 v12, 0x32a5705f, v9
	v_cvt_i32_f32_e32 v11, v11
	s_delay_alu instid0(VALU_DEP_2) | instskip(NEXT) | instid1(VALU_DEP_1)
	v_add_f32_e32 v10, v10, v12
	v_exp_f32_e32 v10, v10
	v_nop
	s_delay_alu instid0(TRANS32_DEP_1) | instskip(NEXT) | instid1(VALU_DEP_1)
	v_ldexp_f32 v10, v10, v11
	v_cndmask_b32_e32 v10, 0, v10, vcc_lo
	v_cmp_nlt_f32_e32 vcc_lo, 0x42b17218, v9
	s_delay_alu instid0(VALU_DEP_2) | instskip(NEXT) | instid1(VALU_DEP_1)
	v_cndmask_b32_e32 v9, 0x7f800000, v10, vcc_lo
	v_add_f32_e32 v9, 1.0, v9
	s_delay_alu instid0(VALU_DEP_1) | instskip(SKIP_1) | instid1(TRANS32_DEP_1)
	v_rcp_f32_e32 v9, v9
	v_nop
	v_fma_f32 v9, v9, -2.0, 1.0
.LBB5_71:                               ;   in Loop: Header=BB5_17 Depth=1
	s_and_not1_saveexec_b32 s24, s24
	s_cbranch_execz .LBB5_73
; %bb.72:                               ;   in Loop: Header=BB5_17 Depth=1
	v_mul_f32_e32 v9, v108, v108
	s_delay_alu instid0(VALU_DEP_1) | instskip(NEXT) | instid1(VALU_DEP_1)
	v_fmaak_f32 v10, s3, v9, 0x3ca908c9
	v_fmaak_f32 v10, v9, v10, 0xbd5c1c4e
	s_delay_alu instid0(VALU_DEP_1) | instskip(NEXT) | instid1(VALU_DEP_1)
	v_fmaak_f32 v10, v9, v10, 0x3e088382
	v_fmaak_f32 v10, v9, v10, 0xbeaaaa99
	s_delay_alu instid0(VALU_DEP_1) | instskip(NEXT) | instid1(VALU_DEP_1)
	v_mul_f32_e64 v10, |v108|, v10
	v_fma_f32 v9, v9, v10, |v108|
.LBB5_73:                               ;   in Loop: Header=BB5_17 Depth=1
	s_or_b32 exec_lo, exec_lo, s24
	v_cmp_ngt_f32_e64 s24, 0x3f200000, |v109|
                                        ; implicit-def: $vgpr10
	s_and_saveexec_b32 s25, s24
	s_delay_alu instid0(SALU_CYCLE_1)
	s_xor_b32 s24, exec_lo, s25
	s_cbranch_execz .LBB5_75
; %bb.74:                               ;   in Loop: Header=BB5_17 Depth=1
	v_add_f32_e64 v10, |v109|, |v109|
	s_delay_alu instid0(VALU_DEP_1) | instskip(SKIP_1) | instid1(VALU_DEP_2)
	v_mul_f32_e32 v11, 0x3fb8aa3b, v10
	v_cmp_ngt_f32_e32 vcc_lo, 0xc2ce8ed0, v10
	v_rndne_f32_e32 v12, v11
	v_fma_f32 v13, 0x3fb8aa3b, v10, -v11
	s_delay_alu instid0(VALU_DEP_2) | instskip(NEXT) | instid1(VALU_DEP_2)
	v_sub_f32_e32 v11, v11, v12
	v_fmac_f32_e32 v13, 0x32a5705f, v10
	v_cvt_i32_f32_e32 v12, v12
	s_delay_alu instid0(VALU_DEP_2) | instskip(NEXT) | instid1(VALU_DEP_1)
	v_add_f32_e32 v11, v11, v13
	v_exp_f32_e32 v11, v11
	v_nop
	s_delay_alu instid0(TRANS32_DEP_1) | instskip(NEXT) | instid1(VALU_DEP_1)
	v_ldexp_f32 v11, v11, v12
	v_cndmask_b32_e32 v11, 0, v11, vcc_lo
	v_cmp_nlt_f32_e32 vcc_lo, 0x42b17218, v10
	s_delay_alu instid0(VALU_DEP_2) | instskip(NEXT) | instid1(VALU_DEP_1)
	v_cndmask_b32_e32 v10, 0x7f800000, v11, vcc_lo
	v_add_f32_e32 v10, 1.0, v10
	s_delay_alu instid0(VALU_DEP_1) | instskip(SKIP_1) | instid1(TRANS32_DEP_1)
	v_rcp_f32_e32 v10, v10
	v_nop
	v_fma_f32 v10, v10, -2.0, 1.0
.LBB5_75:                               ;   in Loop: Header=BB5_17 Depth=1
	s_and_not1_saveexec_b32 s24, s24
	s_cbranch_execz .LBB5_77
; %bb.76:                               ;   in Loop: Header=BB5_17 Depth=1
	v_mul_f32_e32 v10, v109, v109
	s_delay_alu instid0(VALU_DEP_1) | instskip(NEXT) | instid1(VALU_DEP_1)
	v_fmaak_f32 v11, s3, v10, 0x3ca908c9
	v_fmaak_f32 v11, v10, v11, 0xbd5c1c4e
	s_delay_alu instid0(VALU_DEP_1) | instskip(NEXT) | instid1(VALU_DEP_1)
	v_fmaak_f32 v11, v10, v11, 0x3e088382
	v_fmaak_f32 v11, v10, v11, 0xbeaaaa99
	s_delay_alu instid0(VALU_DEP_1) | instskip(NEXT) | instid1(VALU_DEP_1)
	v_mul_f32_e64 v11, |v109|, v11
	v_fma_f32 v10, v10, v11, |v109|
.LBB5_77:                               ;   in Loop: Header=BB5_17 Depth=1
	s_or_b32 exec_lo, exec_lo, s24
	v_cmp_ngt_f32_e64 s24, 0x3f200000, |v110|
                                        ; implicit-def: $vgpr11
	s_and_saveexec_b32 s25, s24
	s_delay_alu instid0(SALU_CYCLE_1)
	s_xor_b32 s24, exec_lo, s25
	s_cbranch_execz .LBB5_79
; %bb.78:                               ;   in Loop: Header=BB5_17 Depth=1
	v_add_f32_e64 v11, |v110|, |v110|
	s_delay_alu instid0(VALU_DEP_1) | instskip(SKIP_1) | instid1(VALU_DEP_2)
	v_mul_f32_e32 v12, 0x3fb8aa3b, v11
	v_cmp_ngt_f32_e32 vcc_lo, 0xc2ce8ed0, v11
	v_rndne_f32_e32 v13, v12
	v_fma_f32 v14, 0x3fb8aa3b, v11, -v12
	s_delay_alu instid0(VALU_DEP_2) | instskip(NEXT) | instid1(VALU_DEP_2)
	v_sub_f32_e32 v12, v12, v13
	v_fmac_f32_e32 v14, 0x32a5705f, v11
	v_cvt_i32_f32_e32 v13, v13
	s_delay_alu instid0(VALU_DEP_2) | instskip(NEXT) | instid1(VALU_DEP_1)
	v_add_f32_e32 v12, v12, v14
	v_exp_f32_e32 v12, v12
	v_nop
	s_delay_alu instid0(TRANS32_DEP_1) | instskip(NEXT) | instid1(VALU_DEP_1)
	v_ldexp_f32 v12, v12, v13
	v_cndmask_b32_e32 v12, 0, v12, vcc_lo
	v_cmp_nlt_f32_e32 vcc_lo, 0x42b17218, v11
	s_delay_alu instid0(VALU_DEP_2) | instskip(NEXT) | instid1(VALU_DEP_1)
	v_cndmask_b32_e32 v11, 0x7f800000, v12, vcc_lo
	v_add_f32_e32 v11, 1.0, v11
	s_delay_alu instid0(VALU_DEP_1) | instskip(SKIP_1) | instid1(TRANS32_DEP_1)
	v_rcp_f32_e32 v11, v11
	v_nop
	v_fma_f32 v11, v11, -2.0, 1.0
.LBB5_79:                               ;   in Loop: Header=BB5_17 Depth=1
	s_and_not1_saveexec_b32 s24, s24
	s_cbranch_execz .LBB5_81
; %bb.80:                               ;   in Loop: Header=BB5_17 Depth=1
	v_mul_f32_e32 v11, v110, v110
	s_delay_alu instid0(VALU_DEP_1) | instskip(NEXT) | instid1(VALU_DEP_1)
	v_fmaak_f32 v12, s3, v11, 0x3ca908c9
	v_fmaak_f32 v12, v11, v12, 0xbd5c1c4e
	s_delay_alu instid0(VALU_DEP_1) | instskip(NEXT) | instid1(VALU_DEP_1)
	v_fmaak_f32 v12, v11, v12, 0x3e088382
	v_fmaak_f32 v12, v11, v12, 0xbeaaaa99
	s_delay_alu instid0(VALU_DEP_1) | instskip(NEXT) | instid1(VALU_DEP_1)
	v_mul_f32_e64 v12, |v110|, v12
	v_fma_f32 v11, v11, v12, |v110|
.LBB5_81:                               ;   in Loop: Header=BB5_17 Depth=1
	s_or_b32 exec_lo, exec_lo, s24
	v_bfi_b32 v8, 0x7fffffff, v8, v107
	v_bfi_b32 v9, 0x7fffffff, v9, v108
	;; [unrolled: 1-line block ×4, first 2 shown]
	s_wait_dscnt 0x0
	v_dual_max_num_f32 v107, v7, v7 :: v_dual_fmac_f32 v23, s26, v8
	s_delay_alu instid0(VALU_DEP_3) | instskip(NEXT) | instid1(VALU_DEP_3)
	v_dual_fmac_f32 v22, s26, v9 :: v_dual_fmac_f32 v21, s26, v10
	v_dual_fmac_f32 v20, s26, v11 :: v_dual_max_num_f32 v116, v6, v6
	s_delay_alu instid0(VALU_DEP_2) | instskip(NEXT) | instid1(VALU_DEP_2)
	v_dual_add_f32 v7, 0x40051340, v23 :: v_dual_add_f32 v8, 0x40051340, v22
	v_dual_add_f32 v6, 0x40051340, v21 :: v_dual_add_f32 v9, 0x40051340, v20
	s_mul_u64 s[24:25], s[4:5], s[10:11]
	v_dual_max_num_f32 v117, v5, v5 :: v_dual_max_num_f32 v118, v4, v4
	s_delay_alu instid0(VALU_DEP_3) | instskip(SKIP_3) | instid1(VALU_DEP_2)
	v_max3_num_f32 v7, v61, v7, v8
	s_lshl_b64 s[24:25], s[24:25], 2
	v_max_num_f32_e32 v2, v2, v2
	s_add_nc_u64 s[24:25], s[8:9], s[24:25]
	v_max3_num_f32 v119, v7, v6, v9
	v_add_nc_u64_e32 v[4:5], s[24:25], v[50:51]
	v_add_nc_u64_e32 v[6:7], s[24:25], v[52:53]
	;; [unrolled: 1-line block ×4, first 2 shown]
	ds_bpermute_b32 v120, v0, v119
	v_max_num_f32_e32 v0, v1, v1
	s_barrier_signal -1
	v_add_nc_u64_e32 v[108:109], v[4:5], v[42:43]
	v_add_nc_u64_e32 v[110:111], v[6:7], v[42:43]
	;; [unrolled: 1-line block ×3, first 2 shown]
	v_dual_max_num_f32 v0, v0, v2 :: v_dual_max_num_f32 v1, v118, v117
	v_max_num_f32_e32 v2, v116, v107
	v_add_nc_u64_e32 v[114:115], v[10:11], v[42:43]
	s_barrier_wait -1
	s_wait_dscnt 0x0
	s_clause 0x3
	global_load_b128 v[4:7], v[108:109], off
	global_load_b128 v[8:11], v[110:111], off
	;; [unrolled: 1-line block ×4, first 2 shown]
	s_wait_xcnt 0x3
	v_dual_sub_f32 v108, v28, v0 :: v_dual_sub_f32 v29, v29, v0
	v_dual_sub_f32 v27, v27, v0 :: v_dual_sub_f32 v26, v26, v0
	;; [unrolled: 1-line block ×3, first 2 shown]
	v_dual_sub_f32 v109, v105, v1 :: v_dual_max_num_f32 v107, v120, v120
	s_wait_xcnt 0x2
	s_delay_alu instid0(VALU_DEP_3) | instskip(SKIP_4) | instid1(VALU_DEP_3)
	v_dual_sub_f32 v110, v106, v1 :: v_dual_mul_f32 v105, 0x3fb8aa3b, v26
	s_wait_xcnt 0x1
	v_dual_mul_f32 v106, 0x3fb8aa3b, v108 :: v_dual_mul_f32 v113, 0x3fb8aa3b, v103
	v_dual_max_num_f32 v28, v119, v107 :: v_dual_sub_f32 v107, v104, v1
	v_dual_mul_f32 v104, 0x3fb8aa3b, v27 :: v_dual_mul_f32 v111, 0x3fb8aa3b, v29
	v_rndne_f32_e32 v123, v106
	ds_bpermute_b32 v30, v30, v28
	v_fma_f32 v122, 0x3fb8aa3b, v108, -v106
	v_rndne_f32_e32 v119, v104
	v_fma_f32 v118, 0x3fb8aa3b, v27, -v104
	s_wait_xcnt 0x0
	v_dual_sub_f32 v93, v93, v0 :: v_dual_mul_f32 v114, 0x3fb8aa3b, v107
	v_mul_f32_e32 v115, 0x3fb8aa3b, v109
	v_mul_f32_e32 v117, 0x3fb8aa3b, v94
	v_rndne_f32_e32 v125, v111
	s_delay_alu instid0(VALU_DEP_4)
	v_mul_f32_e32 v112, 0x3fb8aa3b, v93
	v_fma_f32 v128, 0x3fb8aa3b, v103, -v113
	v_fma_f32 v130, 0x3fb8aa3b, v107, -v114
	;; [unrolled: 1-line block ×3, first 2 shown]
	v_rndne_f32_e32 v132, v115
	v_rndne_f32_e32 v127, v112
	v_fmac_f32_e32 v118, 0x32a5705f, v27
	v_fma_f32 v120, 0x3fb8aa3b, v26, -v105
	v_sub_f32_e32 v104, v104, v119
	v_rndne_f32_e32 v121, v105
	v_fma_f32 v124, 0x3fb8aa3b, v29, -v111
	s_wait_dscnt 0x0
	v_max_num_f32_e32 v30, v30, v30
	v_fma_f32 v126, 0x3fb8aa3b, v93, -v112
	v_dual_sub_f32 v106, v106, v123 :: v_dual_sub_f32 v111, v111, v125
	v_dual_fmac_f32 v128, 0x32a5705f, v103 :: v_dual_fmac_f32 v131, 0x32a5705f, v109
	s_delay_alu instid0(VALU_DEP_4)
	v_max_num_f32_e32 v28, v28, v30
	v_rndne_f32_e32 v30, v114
	v_sub_f32_e32 v112, v112, v127
	v_dual_mul_f32 v116, 0x3fb8aa3b, v110 :: v_dual_sub_f32 v105, v105, v121
	ds_bpermute_b32 v25, v25, v28
	v_fmac_f32_e32 v122, 0x32a5705f, v108
	v_sub_f32_e32 v114, v114, v30
	v_rndne_f32_e32 v129, v113
	v_fmac_f32_e32 v120, 0x32a5705f, v26
	v_cvt_i32_f32_e32 v119, v119
	v_cmp_ngt_f32_e32 vcc_lo, 0xc2ce8ed0, v27
	v_cvt_i32_f32_e32 v127, v127
	v_sub_f32_e32 v113, v113, v129
	v_dual_fmac_f32 v124, 0x32a5705f, v29 :: v_dual_add_f32 v105, v105, v120
	v_fmac_f32_e32 v126, 0x32a5705f, v93
	v_cvt_i32_f32_e32 v30, v30
	v_cvt_i32_f32_e32 v121, v121
	s_delay_alu instid0(VALU_DEP_4)
	v_add_f32_e32 v111, v111, v124
	v_cvt_i32_f32_e32 v123, v123
	v_add_f32_e32 v113, v113, v128
	v_cvt_i32_f32_e32 v125, v125
	v_cvt_i32_f32_e32 v129, v129
	v_fma_f32 v133, 0x3fb8aa3b, v94, -v117
	s_wait_dscnt 0x0
	v_dual_max_num_f32 v25, v25, v25 :: v_dual_fmac_f32 v130, 0x32a5705f, v107
	v_add_f32_e32 v104, v104, v118
	v_add_f32_e32 v106, v106, v122
	v_rndne_f32_e32 v134, v117
	s_delay_alu instid0(VALU_DEP_4)
	v_dual_max_num_f32 v25, v28, v25 :: v_dual_sub_f32 v28, v115, v132
	v_add_f32_e32 v114, v114, v130
	s_or_b32 s24, s4, 32
	v_sub_f32_e32 v60, v60, v2
	ds_bpermute_b32 v24, v24, v25
	v_add_f32_e32 v115, v28, v131
	v_exp_f32_e32 v28, v104
	v_exp_f32_e32 v104, v105
	;; [unrolled: 1-line block ×4, first 2 shown]
	s_ashr_i32 s25, s24, 31
	s_delay_alu instid0(SALU_CYCLE_1)
	s_mul_u64 s[24:25], s[24:25], s[10:11]
	v_ldexp_f32 v28, v28, v119
	v_add_f32_e32 v112, v112, v126
	v_ldexp_f32 v104, v104, v121
	v_ldexp_f32 v105, v105, v123
	;; [unrolled: 1-line block ×3, first 2 shown]
	s_lshl_b64 s[24:25], s[24:25], 2
	v_exp_f32_e32 v111, v112
	v_exp_f32_e32 v112, v113
	;; [unrolled: 1-line block ×3, first 2 shown]
	s_add_nc_u64 s[24:25], s[8:9], s[24:25]
	s_delay_alu instid0(SALU_CYCLE_1) | instskip(NEXT) | instid1(TRANS32_DEP_3)
	v_add_nc_u64_e32 v[168:169], s[24:25], v[56:57]
	v_ldexp_f32 v111, v111, v127
	s_delay_alu instid0(TRANS32_DEP_2) | instskip(NEXT) | instid1(TRANS32_DEP_1)
	v_ldexp_f32 v112, v112, v129
	v_ldexp_f32 v30, v113, v30
	v_cndmask_b32_e32 v113, 0, v28, vcc_lo
	v_cmp_ngt_f32_e32 vcc_lo, 0xc2ce8ed0, v93
	s_wait_dscnt 0x0
	v_max_num_f32_e32 v24, v24, v24
	v_add_nc_u64_e32 v[184:185], v[168:169], v[42:43]
	v_cndmask_b32_e32 v28, 0, v111, vcc_lo
	v_cmp_ngt_f32_e32 vcc_lo, 0xc2ce8ed0, v26
	s_delay_alu instid0(VALU_DEP_4)
	v_max_num_f32_e32 v25, v25, v24
	v_cndmask_b32_e32 v24, 0, v104, vcc_lo
	v_cmp_ngt_f32_e32 vcc_lo, 0xc2ce8ed0, v108
	v_cndmask_b32_e32 v105, 0, v105, vcc_lo
	v_cmp_ngt_f32_e32 vcc_lo, 0xc2ce8ed0, v29
	ds_bpermute_b32 v3, v3, v25
	v_cndmask_b32_e32 v111, 0, v106, vcc_lo
	v_cmp_nlt_f32_e32 vcc_lo, 0x42b17218, v93
	v_cndmask_b32_e32 v28, 0x7f800000, v28, vcc_lo
	v_cmp_ngt_f32_e32 vcc_lo, 0xc2ce8ed0, v103
	v_cndmask_b32_e32 v93, 0, v112, vcc_lo
	v_cmp_ngt_f32_e32 vcc_lo, 0xc2ce8ed0, v107
	s_wait_dscnt 0x0
	v_dual_max_num_f32 v3, v3, v3 :: v_dual_cndmask_b32 v112, 0, v30
	v_cmp_nlt_f32_e32 vcc_lo, 0x42b17218, v27
	v_cvt_f16_f32_e32 v30, v28
	v_rndne_f32_e32 v27, v116
	s_delay_alu instid0(VALU_DEP_4)
	v_max_num_f32_e32 v3, v25, v3
	v_fma_f32 v25, 0x3fb8aa3b, v110, -v116
	v_cndmask_b32_e32 v104, 0x7f800000, v113, vcc_lo
	v_cmp_nlt_f32_e32 vcc_lo, 0x42b17218, v26
	v_and_b32_e32 v26, 0xffff, v30
	v_sub_f32_e32 v61, v61, v3
	v_fmac_f32_e32 v25, 0x32a5705f, v110
	v_dual_sub_f32 v23, v23, v3 :: v_dual_cndmask_b32 v106, 0x7f800000, v24
	v_cmp_nlt_f32_e32 vcc_lo, 0x42b17218, v108
	v_mul_u32_u24_e32 v113, 0x10001, v26
	v_dual_sub_f32 v26, v117, v134 :: v_dual_sub_f32 v22, v22, v3
	v_sub_f32_e32 v20, v20, v3
	v_cndmask_b32_e32 v24, 0x7f800000, v105, vcc_lo
	v_cmp_nlt_f32_e32 vcc_lo, 0x42b17218, v29
	v_exp_f32_e32 v29, v115
	v_pk_mul_f16 v114, v58, v113
	v_cvt_i32_f32_e32 v58, v132
	v_pk_mul_f16 v92, v92, v113
	v_cndmask_b32_e32 v30, 0x7f800000, v111, vcc_lo
	v_cmp_nlt_f32_e32 vcc_lo, 0x42b17218, v103
	v_cvt_i32_f32_e32 v103, v134
	v_ldexp_f32 v29, v29, v58
	v_dual_sub_f32 v58, v102, v2 :: v_dual_mul_f32 v111, 0x3fb8aa3b, v60
	v_cndmask_b32_e32 v105, 0x7f800000, v93, vcc_lo
	v_cmp_nlt_f32_e32 vcc_lo, 0x42b17218, v107
	v_pk_mul_f16 v93, v59, v113
	s_delay_alu instid0(VALU_DEP_4) | instskip(SKIP_3) | instid1(VALU_DEP_4)
	v_dual_mul_f32 v102, 0x3fb8aa3b, v58 :: v_dual_sub_f32 v59, v116, v27
	v_cvt_i32_f32_e32 v27, v27
	v_cndmask_b32_e32 v107, 0x7f800000, v112, vcc_lo
	v_cmp_ngt_f32_e32 vcc_lo, 0xc2ce8ed0, v109
	v_rndne_f32_e32 v108, v102
	v_fmac_f32_e32 v133, 0x32a5705f, v94
	v_add_f32_e32 v25, v59, v25
	v_fma_f32 v112, 0x3fb8aa3b, v60, -v111
	v_cndmask_b32_e32 v59, 0, v29, vcc_lo
	v_cmp_ngt_f32_e32 vcc_lo, 0xc2ce8ed0, v94
	v_add_f32_e32 v26, v26, v133
	s_delay_alu instid0(VALU_DEP_4) | instskip(NEXT) | instid1(VALU_DEP_2)
	v_fmac_f32_e32 v112, 0x32a5705f, v60
	v_exp_f32_e32 v26, v26
	v_nop
	s_delay_alu instid0(TRANS32_DEP_1) | instskip(SKIP_2) | instid1(VALU_DEP_2)
	v_ldexp_f32 v26, v26, v103
	v_exp_f32_e32 v103, v25
	v_nop
	v_cndmask_b32_e32 v25, 0, v26, vcc_lo
	v_cmp_nlt_f32_e32 vcc_lo, 0x42b17218, v94
	v_sub_f32_e32 v26, v101, v2
	s_delay_alu instid0(TRANS32_DEP_1) | instskip(SKIP_1) | instid1(VALU_DEP_3)
	v_ldexp_f32 v27, v103, v27
	v_sub_f32_e32 v103, v31, v2
	v_mul_f32_e32 v94, 0x3fb8aa3b, v26
	v_cndmask_b32_e32 v29, 0x7f800000, v25, vcc_lo
	v_cmp_nlt_f32_e32 vcc_lo, 0x42b17218, v109
	s_delay_alu instid0(VALU_DEP_3) | instskip(SKIP_3) | instid1(VALU_DEP_4)
	v_rndne_f32_e32 v109, v94
	v_cndmask_b32_e32 v25, 0x7f800000, v59, vcc_lo
	v_cmp_ngt_f32_e32 vcc_lo, 0xc2ce8ed0, v110
	v_fma_f32 v59, 0x3fb8aa3b, v26, -v94
	v_sub_f32_e32 v94, v94, v109
	v_cvt_i32_f32_e32 v109, v109
	v_cndmask_b32_e32 v27, 0, v27, vcc_lo
	v_cmp_nlt_f32_e32 vcc_lo, 0x42b17218, v110
	v_fma_f32 v101, 0x3fb8aa3b, v58, -v102
	v_dual_sub_f32 v102, v102, v108 :: v_dual_fmac_f32 v59, 0x32a5705f, v26
	v_cvt_i32_f32_e32 v108, v108
	v_cndmask_b32_e32 v31, 0x7f800000, v27, vcc_lo
	s_delay_alu instid0(VALU_DEP_4) | instskip(SKIP_2) | instid1(VALU_DEP_3)
	v_fmac_f32_e32 v101, 0x32a5705f, v58
	v_cmp_ngt_f32_e32 vcc_lo, 0xc2ce8ed0, v58
	v_dual_add_f32 v59, v94, v59 :: v_dual_sub_f32 v110, v100, v2
	v_add_f32_e32 v101, v102, v101
	v_cvt_f16_f32_e32 v102, v29
	s_delay_alu instid0(VALU_DEP_3) | instskip(NEXT) | instid1(VALU_DEP_1)
	v_exp_f32_e32 v59, v59
	v_and_b32_e32 v94, 0xffff, v102
	v_mul_f32_e32 v102, 0x3fb8aa3b, v103
	v_exp_f32_e32 v101, v101
	s_delay_alu instid0(TRANS32_DEP_2) | instskip(NEXT) | instid1(VALU_DEP_3)
	v_ldexp_f32 v59, v59, v109
	v_mul_u32_u24_e32 v94, 0x10001, v94
	s_delay_alu instid0(TRANS32_DEP_1) | instskip(SKIP_2) | instid1(VALU_DEP_4)
	v_ldexp_f32 v27, v101, v108
	v_fma_f32 v101, 0x3fb8aa3b, v103, -v102
	v_rndne_f32_e32 v108, v102
	v_pk_mul_f16 v89, v89, v94
	s_delay_alu instid0(VALU_DEP_4) | instskip(SKIP_1) | instid1(VALU_DEP_4)
	v_cndmask_b32_e32 v27, 0, v27, vcc_lo
	v_cmp_nlt_f32_e32 vcc_lo, 0x42b17218, v58
	v_dual_fmac_f32 v101, 0x32a5705f, v103 :: v_dual_sub_f32 v102, v102, v108
	v_cvt_i32_f32_e32 v108, v108
	s_delay_alu instid0(VALU_DEP_4) | instskip(SKIP_3) | instid1(VALU_DEP_2)
	v_cndmask_b32_e32 v100, 0x7f800000, v27, vcc_lo
	v_cmp_ngt_f32_e32 vcc_lo, 0xc2ce8ed0, v26
	v_mul_f32_e32 v109, 0x3fb8aa3b, v110
	v_dual_add_f32 v27, v102, v101 :: v_dual_cndmask_b32 v58, 0, v59
	v_fma_f32 v59, 0x3fb8aa3b, v110, -v109
	v_rndne_f32_e32 v101, v109
	v_cmp_nlt_f32_e32 vcc_lo, 0x42b17218, v26
	s_delay_alu instid0(VALU_DEP_4) | instskip(NEXT) | instid1(VALU_DEP_3)
	v_exp_f32_e32 v27, v27
	v_fmac_f32_e32 v59, 0x32a5705f, v110
	s_delay_alu instid0(VALU_DEP_3) | instskip(SKIP_2) | instid1(TRANS32_DEP_1)
	v_dual_sub_f32 v109, v109, v101 :: v_dual_cndmask_b32 v102, 0x7f800000, v58
	v_cmp_ngt_f32_e32 vcc_lo, 0xc2ce8ed0, v103
	v_cvt_i32_f32_e32 v101, v101
	v_ldexp_f32 v26, v27, v108
	s_delay_alu instid0(VALU_DEP_4) | instskip(SKIP_1) | instid1(VALU_DEP_3)
	v_add_f32_e32 v58, v109, v59
	v_rndne_f32_e32 v115, v111
	v_cndmask_b32_e32 v26, 0, v26, vcc_lo
	v_cmp_nlt_f32_e32 vcc_lo, 0x42b17218, v103
	s_delay_alu instid0(VALU_DEP_3) | instskip(SKIP_3) | instid1(VALU_DEP_3)
	v_sub_f32_e32 v27, v111, v115
	v_exp_f32_e32 v58, v58
	v_cvt_i32_f32_e32 v111, v115
	v_mul_f32_e32 v115, 0x3fb8aa3b, v61
	v_dual_cndmask_b32 v26, 0x7f800000, v26 :: v_dual_add_f32 v27, v27, v112
	v_cmp_ngt_f32_e32 vcc_lo, 0xc2ce8ed0, v110
	s_delay_alu instid0(VALU_DEP_3) | instskip(SKIP_1) | instid1(VALU_DEP_4)
	v_rndne_f32_e32 v117, v115
	v_mul_f32_e32 v59, 0x3fb8aa3b, v23
	v_exp_f32_e32 v27, v27
	v_ldexp_f32 v58, v58, v101
	v_mul_f32_e32 v101, 0x3fb8aa3b, v22
	s_delay_alu instid0(VALU_DEP_3) | instskip(SKIP_1) | instid1(VALU_DEP_4)
	v_fma_f32 v108, 0x3fb8aa3b, v23, -v59
	v_rndne_f32_e32 v109, v59
	v_cndmask_b32_e32 v58, 0, v58, vcc_lo
	s_delay_alu instid0(TRANS32_DEP_1) | instskip(SKIP_1) | instid1(VALU_DEP_4)
	v_ldexp_f32 v27, v27, v111
	v_cmp_ngt_f32_e32 vcc_lo, 0xc2ce8ed0, v60
	v_dual_fmac_f32 v108, 0x32a5705f, v23 :: v_dual_sub_f32 v59, v59, v109
	v_cvt_i32_f32_e32 v103, v109
	v_rndne_f32_e32 v109, v101
	v_cndmask_b32_e32 v27, 0, v27, vcc_lo
	v_cmp_nlt_f32_e32 vcc_lo, 0x42b17218, v110
	v_add_f32_e32 v59, v59, v108
	v_fma_f32 v108, 0x3fb8aa3b, v22, -v101
	v_dual_sub_f32 v21, v21, v3 :: v_dual_cndmask_b32 v58, 0x7f800000, v58
	v_cmp_nlt_f32_e32 vcc_lo, 0x42b17218, v60
	s_delay_alu instid0(VALU_DEP_4) | instskip(NEXT) | instid1(VALU_DEP_3)
	v_exp_f32_e32 v59, v59
	v_fmac_f32_e32 v108, 0x32a5705f, v22
	v_dual_cndmask_b32 v60, 0x7f800000, v27 :: v_dual_sub_f32 v27, v101, v109
	v_cmp_ngt_f32_e32 vcc_lo, 0xc2ce8ed0, v23
	s_delay_alu instid0(TRANS32_DEP_1) | instskip(SKIP_1) | instid1(VALU_DEP_4)
	v_ldexp_f32 v59, v59, v103
	v_cvt_i32_f32_e32 v109, v109
	v_add_f32_e32 v27, v27, v108
	v_fma_f32 v116, 0x3fb8aa3b, v61, -v115
	s_delay_alu instid0(VALU_DEP_4) | instskip(SKIP_1) | instid1(VALU_DEP_4)
	v_cndmask_b32_e32 v59, 0, v59, vcc_lo
	v_cmp_ngt_f32_e32 vcc_lo, 0xc2ce8ed0, v22
	v_exp_f32_e32 v27, v27
	s_delay_alu instid0(VALU_DEP_3) | instskip(SKIP_1) | instid1(VALU_DEP_1)
	v_fmac_f32_e32 v116, 0x32a5705f, v61
	v_mul_f32_e32 v101, 0x3fb8aa3b, v21
	v_fma_f32 v108, 0x3fb8aa3b, v21, -v101
	v_rndne_f32_e32 v110, v101
	s_delay_alu instid0(TRANS32_DEP_1) | instskip(SKIP_1) | instid1(VALU_DEP_3)
	v_ldexp_f32 v27, v27, v109
	v_cvt_i32_f32_e32 v109, v117
	v_dual_fmac_f32 v108, 0x32a5705f, v21 :: v_dual_sub_f32 v101, v101, v110
	v_cvt_i32_f32_e32 v110, v110
	s_delay_alu instid0(VALU_DEP_4) | instskip(SKIP_1) | instid1(VALU_DEP_4)
	v_cndmask_b32_e32 v27, 0, v27, vcc_lo
	v_cmp_ngt_f32_e32 vcc_lo, 0xc2ce8ed0, v21
	v_dual_add_f32 v101, v101, v108 :: v_dual_sub_f32 v108, v115, v117
	v_add_nc_u32_e32 v115, v78, v68
	s_delay_alu instid0(VALU_DEP_2) | instskip(NEXT) | instid1(VALU_DEP_2)
	v_exp_f32_e32 v101, v101
	v_add_f32_e32 v108, v108, v116
	v_cvt_f16_f32_e32 v116, v60
	s_delay_alu instid0(VALU_DEP_2) | instskip(NEXT) | instid1(TRANS32_DEP_2)
	v_exp_f32_e32 v108, v108
	v_ldexp_f32 v101, v101, v110
	s_delay_alu instid0(VALU_DEP_1) | instskip(NEXT) | instid1(VALU_DEP_1)
	v_dual_mul_f32 v103, 0x3fb8aa3b, v20 :: v_dual_cndmask_b32 v110, 0, v101
	v_fma_f32 v111, 0x3fb8aa3b, v20, -v103
	v_rndne_f32_e32 v112, v103
	v_cmp_ngt_f32_e32 vcc_lo, 0xc2ce8ed0, v20
	s_delay_alu instid0(TRANS32_DEP_1) | instskip(NEXT) | instid1(VALU_DEP_4)
	v_ldexp_f32 v108, v108, v109
	v_fmac_f32_e32 v111, 0x32a5705f, v20
	s_delay_alu instid0(VALU_DEP_4) | instskip(NEXT) | instid1(VALU_DEP_1)
	v_sub_f32_e32 v103, v103, v112
	v_add_f32_e32 v103, v103, v111
	v_cvt_i32_f32_e32 v111, v112
	s_delay_alu instid0(VALU_DEP_2) | instskip(SKIP_1) | instid1(TRANS32_DEP_1)
	v_exp_f32_e32 v103, v103
	v_nop
	v_ldexp_f32 v103, v103, v111
	s_delay_alu instid0(VALU_DEP_1)
	v_cndmask_b32_e32 v111, 0, v103, vcc_lo
	v_cmp_nlt_f32_e32 vcc_lo, 0x42b17218, v23
	v_cndmask_b32_e32 v101, 0x7f800000, v59, vcc_lo
	v_cmp_nlt_f32_e32 vcc_lo, 0x42b17218, v22
	v_cvt_pk_f16_f32 v22, v106, v107
	v_cndmask_b32_e32 v103, 0x7f800000, v27, vcc_lo
	v_cmp_nlt_f32_e32 vcc_lo, 0x42b17218, v21
	v_cvt_pk_f16_f32 v21, v100, v101
	s_delay_alu instid0(VALU_DEP_3) | instskip(SKIP_4) | instid1(VALU_DEP_4)
	v_cvt_pk_f16_f32 v23, v102, v103
	v_cndmask_b32_e32 v27, 0x7f800000, v110, vcc_lo
	v_cmp_nlt_f32_e32 vcc_lo, 0x42b17218, v20
	v_cvt_pk_f16_f32 v20, v104, v105
	v_cvt_pk_f16_f32 v110, v30, v31
	;; [unrolled: 1-line block ×3, first 2 shown]
	v_cndmask_b32_e32 v59, 0x7f800000, v111, vcc_lo
	v_cmp_ngt_f32_e32 vcc_lo, 0xc2ce8ed0, v61
	s_delay_alu instid0(VALU_DEP_2)
	v_cvt_pk_f16_f32 v111, v58, v59
	v_cndmask_b32_e32 v112, 0, v108, vcc_lo
	v_cmp_nlt_f32_e32 vcc_lo, 0x42b17218, v61
	v_cvt_pk_f16_f32 v108, v24, v25
	ds_store_2addr_b64 v115, v[20:21], v[22:23] offset1:32
	ds_store_2addr_b64 v115, v[108:109], v[110:111] offset0:64 offset1:96
	s_wait_loadcnt 0x3
	ds_store_b128 v79, v[4:7]
	s_wait_loadcnt 0x2
	ds_store_b128 v80, v[8:11]
	;; [unrolled: 2-line block ×4, first 2 shown]
	v_cndmask_b32_e32 v61, 0x7f800000, v112, vcc_lo
	s_wait_dscnt 0x0
	s_barrier_signal -1
	s_barrier_wait -1
	ds_load_b128 v[4:7], v78
	v_and_b32_e32 v8, 0xffff, v116
	v_cvt_f16_f32_e32 v9, v61
	v_pk_mul_f16 v108, v90, v94
	v_add_nc_u32_e32 v90, 0x5000, v68
	v_pk_mul_f16 v110, v65, v94
	v_mul_u32_u24_e32 v109, 0x10001, v8
	v_and_b32_e32 v12, 0xffff, v9
	ds_load_2addr_b64 v[8:11], v90 offset1:32
	v_pk_mul_f16 v111, v63, v109
	v_mul_u32_u24_e32 v16, 0x10001, v12
	ds_load_b128 v[12:15], v78 offset:16
	v_pk_mul_f16 v112, v62, v109
	v_pk_mul_f16 v115, v64, v109
	v_pk_add_f32 v[64:65], v[104:105], v[106:107]
	v_pk_mul_f16 v86, v86, v16
	v_pk_mul_f16 v83, v83, v16
	s_wait_dscnt 0x2
	v_and_b32_e32 v17, 0xffff, v4
	v_lshrrev_b32_e32 v4, 16, v4
	v_and_b32_e32 v18, 0xffff, v5
	v_pk_add_f32 v[62:63], v[100:101], v[102:103]
	v_lshrrev_b32_e32 v5, 16, v5
	v_mul_u32_u24_e32 v102, 0x10001, v17
	v_mul_u32_u24_e32 v4, 0x10001, v4
	;; [unrolled: 1-line block ×3, first 2 shown]
	v_pk_mul_f16 v100, v85, v16
	v_pk_mul_f16 v101, v84, v16
	v_mul_u32_u24_e32 v5, 0x10001, v5
	s_wait_dscnt 0x1
	v_pk_mul_f16 v84, v8, v102
	v_pk_mul_f16 v85, v8, v4
	;; [unrolled: 1-line block ×3, first 2 shown]
	ds_load_b128 v[16:19], v78 offset:32
	ds_load_b128 v[20:23], v78 offset:48
	v_pk_fma_f16 v8, v8, v5, v86
	v_pk_fma_f16 v91, v91, v113, v84
	;; [unrolled: 1-line block ×4, first 2 shown]
	ds_load_2addr_b64 v[84:87], v90 offset0:64 offset1:96
	v_pk_fma_f16 v93, v9, v102, v93
	v_pk_fma_f16 v104, v9, v4, v108
	;; [unrolled: 1-line block ×9, first 2 shown]
	v_and_b32_e32 v4, 0xffff, v6
	v_lshrrev_b32_e32 v6, 16, v6
	v_and_b32_e32 v101, 0xffff, v7
	v_lshrrev_b32_e32 v7, 16, v7
	v_pk_fma_f16 v92, v11, v102, v92
	v_pk_fma_f16 v102, v11, v103, v115
	v_mul_u32_u24_e32 v103, 0x10001, v4
	v_mul_u32_u24_e32 v108, 0x10001, v6
	;; [unrolled: 1-line block ×3, first 2 shown]
	v_pk_fma_f16 v11, v11, v5, v83
	ds_load_2addr_b64 v[4:7], v90 offset0:128 offset1:160
	v_mul_u32_u24_e32 v101, 0x10001, v101
	s_wait_dscnt 0x1
	v_pk_fma_f16 v83, v84, v103, v91
	v_pk_fma_f16 v88, v84, v108, v88
	;; [unrolled: 1-line block ×12, first 2 shown]
	v_and_b32_e32 v9, 0xffff, v12
	v_lshrrev_b32_e32 v10, 16, v12
	v_and_b32_e32 v12, 0xffff, v13
	v_lshrrev_b32_e32 v13, 16, v13
	v_pk_fma_f16 v92, v87, v103, v92
	v_pk_fma_f16 v101, v87, v101, v102
	v_mul_u32_u24_e32 v102, 0x10001, v9
	v_mul_u32_u24_e32 v103, 0x10001, v10
	;; [unrolled: 1-line block ×4, first 2 shown]
	v_pk_fma_f16 v89, v87, v108, v89
	v_pk_fma_f16 v87, v87, v109, v11
	s_wait_dscnt 0x0
	v_pk_fma_f16 v83, v4, v102, v83
	v_pk_fma_f16 v106, v4, v103, v88
	;; [unrolled: 1-line block ×4, first 2 shown]
	ds_load_2addr_b64 v[8:11], v90 offset0:192 offset1:224
	v_pk_fma_f16 v84, v5, v102, v84
	v_pk_fma_f16 v93, v5, v103, v93
	;; [unrolled: 1-line block ×8, first 2 shown]
	v_and_b32_e32 v5, 0xffff, v14
	v_lshrrev_b32_e32 v6, 16, v14
	v_and_b32_e32 v14, 0xffff, v15
	v_lshrrev_b32_e32 v15, 16, v15
	v_pk_fma_f16 v12, v7, v12, v101
	v_mul_u32_u24_e32 v101, 0x10001, v5
	v_pk_fma_f16 v13, v7, v13, v87
	v_mul_u32_u24_e32 v87, 0x10001, v6
	v_mul_u32_u24_e32 v14, 0x10001, v14
	;; [unrolled: 1-line block ×3, first 2 shown]
	v_add_nc_u32_e32 v88, 0x5800, v68
	v_pk_fma_f16 v92, v7, v102, v92
	v_pk_fma_f16 v89, v7, v103, v89
	s_wait_dscnt 0x0
	v_pk_fma_f16 v83, v8, v101, v83
	v_pk_fma_f16 v102, v8, v87, v106
	;; [unrolled: 1-line block ×4, first 2 shown]
	ds_load_2addr_b64 v[4:7], v88 offset1:32
	v_pk_fma_f16 v84, v9, v101, v84
	v_pk_fma_f16 v93, v9, v87, v93
	;; [unrolled: 1-line block ×8, first 2 shown]
	v_and_b32_e32 v9, 0xffff, v16
	v_lshrrev_b32_e32 v10, 16, v16
	v_and_b32_e32 v16, 0xffff, v17
	v_lshrrev_b32_e32 v17, 16, v17
	v_pk_fma_f16 v87, v11, v87, v89
	v_pk_fma_f16 v12, v11, v14, v12
	v_mul_u32_u24_e32 v14, 0x10001, v9
	v_mul_u32_u24_e32 v89, 0x10001, v10
	;; [unrolled: 1-line block ×4, first 2 shown]
	v_pk_fma_f16 v92, v11, v101, v92
	v_pk_fma_f16 v13, v11, v15, v13
	s_wait_dscnt 0x0
	v_pk_fma_f16 v15, v4, v14, v83
	v_pk_fma_f16 v83, v4, v89, v102
	;; [unrolled: 1-line block ×4, first 2 shown]
	ds_load_2addr_b64 v[8:11], v88 offset0:64 offset1:96
	v_pk_fma_f16 v84, v5, v14, v84
	v_pk_fma_f16 v93, v5, v89, v93
	;; [unrolled: 1-line block ×8, first 2 shown]
	v_and_b32_e32 v5, 0xffff, v18
	v_lshrrev_b32_e32 v6, 16, v18
	v_and_b32_e32 v18, 0xffff, v19
	v_lshrrev_b32_e32 v19, 16, v19
	v_pk_fma_f16 v87, v7, v89, v87
	v_pk_fma_f16 v12, v7, v16, v12
	v_mul_u32_u24_e32 v16, 0x10001, v5
	v_mul_u32_u24_e32 v89, 0x10001, v6
	v_mul_u32_u24_e32 v18, 0x10001, v18
	v_mul_u32_u24_e32 v19, 0x10001, v19
	v_pk_fma_f16 v14, v7, v14, v92
	v_pk_fma_f16 v13, v7, v17, v13
	s_wait_dscnt 0x0
	v_pk_fma_f16 v15, v8, v16, v15
	v_pk_fma_f16 v17, v8, v89, v83
	;; [unrolled: 1-line block ×4, first 2 shown]
	ds_load_2addr_b64 v[4:7], v88 offset0:128 offset1:160
	v_pk_fma_f16 v84, v9, v16, v84
	v_pk_fma_f16 v91, v9, v89, v93
	;; [unrolled: 1-line block ×8, first 2 shown]
	v_and_b32_e32 v9, 0xffff, v20
	v_lshrrev_b32_e32 v10, 16, v20
	v_and_b32_e32 v20, 0xffff, v21
	v_lshrrev_b32_e32 v21, 16, v21
	v_pk_fma_f16 v14, v11, v16, v14
	v_pk_fma_f16 v16, v11, v89, v87
	;; [unrolled: 1-line block ×3, first 2 shown]
	v_mul_u32_u24_e32 v20, 0x10001, v20
	v_mul_u32_u24_e32 v21, 0x10001, v21
	;; [unrolled: 1-line block ×4, first 2 shown]
	v_pk_fma_f16 v13, v11, v19, v13
	s_wait_dscnt 0x0
	v_pk_fma_f16 v19, v4, v20, v83
	v_pk_fma_f16 v83, v4, v21, v8
	ds_load_2addr_b64 v[8:11], v88 offset0:192 offset1:224
	v_pk_fma_f16 v15, v4, v18, v15
	v_pk_fma_f16 v17, v4, v87, v17
	;; [unrolled: 1-line block ×6, first 2 shown]
	v_and_b32_e32 v4, 0xffff, v22
	v_lshrrev_b32_e32 v5, 16, v22
	v_pk_fma_f16 v93, v6, v18, v93
	v_pk_fma_f16 v94, v6, v87, v94
	;; [unrolled: 1-line block ×8, first 2 shown]
	v_and_b32_e32 v12, 0xffff, v23
	v_lshrrev_b32_e32 v13, 16, v23
	v_mul_u32_u24_e32 v22, 0x10001, v4
	v_mul_u32_u24_e32 v23, 0x10001, v5
	ds_load_b128 v[4:7], v78 offset:64
	v_add_nc_u32_e32 v84, 0x6000, v68
	v_mul_u32_u24_e32 v87, 0x10001, v12
	v_mul_u32_u24_e32 v101, 0x10001, v13
	s_wait_dscnt 0x1
	v_pk_fma_f16 v102, v8, v22, v15
	v_pk_fma_f16 v103, v8, v23, v17
	ds_load_2addr_b64 v[12:15], v84 offset1:32
	v_pk_fma_f16 v104, v8, v87, v19
	v_pk_fma_f16 v8, v8, v101, v83
	;; [unrolled: 1-line block ×12, first 2 shown]
	ds_load_b128 v[16:19], v78 offset:80
	s_wait_dscnt 0x2
	v_and_b32_e32 v9, 0xffff, v4
	v_lshrrev_b32_e32 v4, 16, v4
	v_and_b32_e32 v10, 0xffff, v5
	v_lshrrev_b32_e32 v5, 16, v5
	v_pk_fma_f16 v20, v11, v87, v20
	v_mul_u32_u24_e32 v87, 0x10001, v9
	v_mul_u32_u24_e32 v4, 0x10001, v4
	;; [unrolled: 1-line block ×4, first 2 shown]
	v_pk_fma_f16 v21, v11, v101, v21
	s_wait_dscnt 0x1
	v_pk_fma_f16 v101, v12, v87, v102
	v_pk_fma_f16 v102, v12, v4, v103
	;; [unrolled: 1-line block ×4, first 2 shown]
	ds_load_2addr_b64 v[8:11], v84 offset0:64 offset1:96
	v_pk_fma_f16 v83, v13, v87, v83
	v_pk_fma_f16 v89, v13, v4, v89
	;; [unrolled: 1-line block ×9, first 2 shown]
	v_and_b32_e32 v4, 0xffff, v6
	v_lshrrev_b32_e32 v6, 16, v6
	v_and_b32_e32 v86, 0xffff, v7
	v_lshrrev_b32_e32 v7, 16, v7
	v_pk_fma_f16 v22, v15, v87, v22
	v_pk_fma_f16 v20, v15, v100, v20
	v_mul_u32_u24_e32 v87, 0x10001, v4
	v_mul_u32_u24_e32 v94, 0x10001, v6
	;; [unrolled: 1-line block ×3, first 2 shown]
	v_pk_fma_f16 v15, v15, v5, v21
	ds_load_2addr_b64 v[4:7], v84 offset0:128 offset1:160
	v_mul_u32_u24_e32 v86, 0x10001, v86
	s_wait_dscnt 0x1
	v_pk_fma_f16 v21, v8, v87, v101
	v_pk_fma_f16 v101, v8, v94, v102
	;; [unrolled: 1-line block ×12, first 2 shown]
	v_and_b32_e32 v9, 0xffff, v16
	v_lshrrev_b32_e32 v10, 16, v16
	v_and_b32_e32 v16, 0xffff, v17
	v_lshrrev_b32_e32 v17, 16, v17
	v_pk_fma_f16 v22, v11, v87, v22
	v_pk_fma_f16 v23, v11, v94, v23
	;; [unrolled: 1-line block ×3, first 2 shown]
	v_mul_u32_u24_e32 v86, 0x10001, v9
	v_mul_u32_u24_e32 v17, 0x10001, v17
	;; [unrolled: 1-line block ×4, first 2 shown]
	v_pk_fma_f16 v15, v11, v100, v15
	s_wait_dscnt 0x0
	v_pk_fma_f16 v21, v4, v86, v21
	v_pk_fma_f16 v100, v4, v17, v8
	ds_load_2addr_b64 v[8:11], v84 offset0:192 offset1:224
	v_pk_fma_f16 v93, v4, v87, v101
	v_pk_fma_f16 v94, v4, v16, v102
	;; [unrolled: 1-line block ×6, first 2 shown]
	v_and_b32_e32 v4, 0xffff, v18
	v_lshrrev_b32_e32 v5, 16, v18
	v_pk_fma_f16 v102, v6, v86, v85
	v_pk_fma_f16 v91, v6, v87, v91
	;; [unrolled: 1-line block ×8, first 2 shown]
	v_and_b32_e32 v13, 0xffff, v19
	v_mul_u32_u24_e32 v16, 0x10001, v4
	v_mul_u32_u24_e32 v17, 0x10001, v5
	ds_load_b128 v[4:7], v78 offset:96
	v_lshrrev_b32_e32 v14, 16, v19
	v_mul_u32_u24_e32 v87, 0x10001, v13
	v_add_nc_u32_e32 v85, 0x6800, v68
	s_wait_dscnt 0x1
	v_pk_fma_f16 v21, v8, v16, v21
	v_pk_fma_f16 v93, v8, v17, v93
	v_mul_u32_u24_e32 v104, 0x10001, v14
	v_pk_fma_f16 v94, v8, v87, v94
	v_pk_fma_f16 v83, v9, v17, v83
	;; [unrolled: 1-line block ×6, first 2 shown]
	ds_load_2addr_b64 v[12:15], v85 offset1:32
	v_pk_fma_f16 v101, v9, v104, v101
	v_pk_fma_f16 v91, v10, v17, v91
	;; [unrolled: 1-line block ×4, first 2 shown]
	ds_load_b128 v[16:19], v78 offset:112
	v_pk_fma_f16 v92, v10, v87, v92
	s_wait_dscnt 0x2
	v_and_b32_e32 v9, 0xffff, v4
	v_lshrrev_b32_e32 v4, 16, v4
	v_pk_fma_f16 v103, v10, v104, v103
	v_and_b32_e32 v10, 0xffff, v5
	v_lshrrev_b32_e32 v5, 16, v5
	v_pk_fma_f16 v20, v11, v87, v20
	v_mul_u32_u24_e32 v4, 0x10001, v4
	v_mul_u32_u24_e32 v87, 0x10001, v9
	;; [unrolled: 1-line block ×3, first 2 shown]
	v_pk_fma_f16 v86, v11, v104, v86
	v_pk_add_f32 v[64:65], v[24:25], v[64:65]
	v_pk_add_f32 v[62:63], v[26:27], v[62:63]
	s_wait_dscnt 0x1
	v_pk_fma_f16 v93, v12, v4, v93
	v_pk_fma_f16 v83, v13, v4, v83
	;; [unrolled: 1-line block ×4, first 2 shown]
	v_and_b32_e32 v4, 0xffff, v6
	v_lshrrev_b32_e32 v6, 16, v6
	v_mul_u32_u24_e32 v5, 0x10001, v5
	v_pk_fma_f16 v21, v12, v87, v21
	v_pk_fma_f16 v94, v12, v105, v94
	;; [unrolled: 1-line block ×5, first 2 shown]
	ds_load_2addr_b64 v[8:11], v85 offset0:64 offset1:96
	v_pk_fma_f16 v13, v13, v5, v101
	v_pk_fma_f16 v101, v14, v87, v102
	;; [unrolled: 1-line block ×3, first 2 shown]
	v_and_b32_e32 v87, 0xffff, v7
	v_lshrrev_b32_e32 v7, 16, v7
	v_pk_fma_f16 v92, v14, v105, v92
	v_pk_fma_f16 v14, v14, v5, v103
	;; [unrolled: 1-line block ×3, first 2 shown]
	v_mul_u32_u24_e32 v102, 0x10001, v4
	v_mul_u32_u24_e32 v103, 0x10001, v6
	;; [unrolled: 1-line block ×3, first 2 shown]
	v_pk_fma_f16 v15, v15, v5, v86
	ds_load_2addr_b64 v[4:7], v85 offset0:128 offset1:160
	v_mul_u32_u24_e32 v87, 0x10001, v87
	v_pk_add_f32 v[30:31], v[30:31], v[64:65]
	s_wait_dscnt 0x1
	v_pk_fma_f16 v21, v8, v102, v21
	v_pk_fma_f16 v86, v8, v103, v93
	;; [unrolled: 1-line block ×12, first 2 shown]
	v_and_b32_e32 v9, 0xffff, v16
	v_lshrrev_b32_e32 v10, 16, v16
	v_and_b32_e32 v16, 0xffff, v17
	v_lshrrev_b32_e32 v17, 16, v17
	v_pk_fma_f16 v20, v11, v87, v20
	v_mul_u32_u24_e32 v87, 0x10001, v9
	v_mul_u32_u24_e32 v100, 0x10001, v10
	;; [unrolled: 1-line block ×4, first 2 shown]
	v_pk_fma_f16 v22, v11, v102, v22
	v_pk_fma_f16 v23, v11, v103, v23
	;; [unrolled: 1-line block ×3, first 2 shown]
	s_wait_dscnt 0x0
	v_pk_fma_f16 v21, v4, v87, v21
	v_pk_fma_f16 v86, v4, v100, v86
	;; [unrolled: 1-line block ×4, first 2 shown]
	ds_load_2addr_b64 v[8:11], v85 offset0:192 offset1:224
	v_pk_fma_f16 v101, v5, v87, v12
	v_pk_fma_f16 v83, v5, v100, v83
	;; [unrolled: 1-line block ×4, first 2 shown]
	v_and_b32_e32 v12, 0xffff, v18
	v_lshrrev_b32_e32 v13, 16, v18
	v_pk_fma_f16 v94, v6, v87, v94
	v_pk_fma_f16 v91, v6, v100, v91
	;; [unrolled: 1-line block ×7, first 2 shown]
	v_mul_u32_u24_e32 v100, 0x10001, v12
	v_mul_u32_u24_e32 v102, 0x10001, v13
	ds_load_b128 v[12:15], v78 offset:128
	v_pk_fma_f16 v20, v7, v16, v20
	v_lshrrev_b32_e32 v16, 16, v19
	v_and_b32_e32 v7, 0xffff, v19
	s_wait_dscnt 0x1
	v_pk_fma_f16 v105, v8, v102, v86
	v_add_nc_u32_e32 v86, 0x7000, v68
	v_pk_fma_f16 v21, v8, v100, v21
	v_mul_u32_u24_e32 v104, 0x10001, v16
	v_mul_u32_u24_e32 v103, 0x10001, v7
	v_pk_fma_f16 v101, v9, v100, v101
	ds_load_2addr_b64 v[16:19], v86 offset1:32
	v_pk_fma_f16 v83, v9, v102, v83
	v_pk_fma_f16 v106, v9, v104, v5
	;; [unrolled: 1-line block ×6, first 2 shown]
	ds_load_b128 v[4:7], v78 offset:144
	v_pk_fma_f16 v94, v10, v100, v94
	v_pk_fma_f16 v91, v10, v102, v91
	s_wait_dscnt 0x2
	v_and_b32_e32 v9, 0xffff, v12
	v_pk_fma_f16 v92, v10, v103, v92
	v_pk_fma_f16 v22, v11, v100, v22
	v_lshrrev_b32_e32 v10, 16, v12
	v_and_b32_e32 v12, 0xffff, v13
	v_lshrrev_b32_e32 v13, 16, v13
	v_mul_u32_u24_e32 v100, 0x10001, v9
	v_pk_fma_f16 v23, v11, v102, v23
	v_mul_u32_u24_e32 v102, 0x10001, v10
	v_mul_u32_u24_e32 v12, 0x10001, v12
	v_pk_fma_f16 v20, v11, v103, v20
	s_wait_dscnt 0x1
	v_pk_fma_f16 v21, v16, v100, v21
	v_pk_fma_f16 v101, v17, v100, v101
	;; [unrolled: 1-line block ×4, first 2 shown]
	v_and_b32_e32 v100, 0xffff, v14
	v_lshrrev_b32_e32 v14, 16, v14
	v_mul_u32_u24_e32 v13, 0x10001, v13
	v_pk_fma_f16 v87, v11, v104, v87
	v_pk_fma_f16 v103, v16, v102, v105
	;; [unrolled: 1-line block ×5, first 2 shown]
	ds_load_2addr_b64 v[8:11], v86 offset0:64 offset1:96
	v_pk_fma_f16 v91, v18, v102, v91
	v_pk_fma_f16 v23, v19, v102, v23
	v_and_b32_e32 v102, 0xffff, v15
	s_wait_dscnt 0x1
	v_dual_lshrrev_b32 v15, 16, v15 :: v_dual_lshrrev_b32 v199, 16, v4
	v_mul_u32_u24_e32 v100, 0x10001, v100
	v_mul_u32_u24_e32 v104, 0x10001, v14
	;; [unrolled: 1-line block ×3, first 2 shown]
	s_delay_alu instid0(VALU_DEP_4)
	v_mul_u32_u24_e32 v186, 0x10001, v15
	v_pk_fma_f16 v89, v17, v12, v89
	v_pk_fma_f16 v17, v17, v13, v106
	;; [unrolled: 1-line block ×3, first 2 shown]
	v_and_b32_e32 v200, 0xffff, v5
	v_lshrrev_b32_e32 v201, 16, v5
	v_pk_fma_f16 v18, v18, v13, v107
	v_pk_fma_f16 v20, v19, v12, v20
	v_pk_fma_f16 v187, v19, v13, v87
	v_add_nc_u32_e32 v87, 0x7800, v68
	ds_load_2addr_b64 v[12:15], v86 offset0:128 offset1:160
	s_wait_dscnt 0x1
	v_pk_fma_f16 v188, v8, v100, v21
	v_pk_fma_f16 v189, v8, v104, v103
	;; [unrolled: 1-line block ×4, first 2 shown]
	v_and_b32_e32 v8, 0xffff, v4
	v_add_nc_u64_e32 v[4:5], s[24:25], v[50:51]
	v_pk_fma_f16 v192, v9, v100, v101
	v_pk_fma_f16 v193, v9, v104, v83
	;; [unrolled: 1-line block ×4, first 2 shown]
	v_mul_u32_u24_e32 v203, 0x10001, v8
	v_add_nc_u64_e32 v[8:9], s[24:25], v[52:53]
	v_pk_fma_f16 v196, v10, v102, v92
	v_add_nc_u64_e32 v[92:93], s[24:25], v[54:55]
	v_add_nc_u64_e32 v[4:5], v[4:5], v[42:43]
	v_add_nc_u32_e32 v89, 0x8000, v68
	v_add_nc_u32_e32 v83, 0x8800, v68
	v_pk_fma_f16 v94, v10, v100, v94
	v_add_nc_u64_e32 v[8:9], v[8:9], v[42:43]
	v_pk_fma_f16 v91, v10, v104, v91
	v_add_nc_u64_e32 v[92:93], v[92:93], v[42:43]
	v_pk_fma_f16 v10, v10, v186, v18
	v_pk_fma_f16 v197, v11, v100, v22
	;; [unrolled: 1-line block ×4, first 2 shown]
	ds_load_2addr_b64 v[20:23], v86 offset0:192 offset1:224
	ds_load_2addr_b64 v[16:19], v87 offset1:32
	ds_load_b128 v[100:103], v78 offset:160
	ds_load_b128 v[104:107], v78 offset:176
	ds_load_2addr_b64 v[108:111], v87 offset0:64 offset1:96
	ds_load_2addr_b64 v[112:115], v87 offset0:128 offset1:160
	;; [unrolled: 1-line block ×3, first 2 shown]
	ds_load_2addr_b64 v[120:123], v89 offset1:32
	ds_load_b128 v[124:127], v78 offset:192
	ds_load_b128 v[128:131], v78 offset:208
	ds_load_2addr_b64 v[132:135], v89 offset0:64 offset1:96
	ds_load_2addr_b64 v[136:139], v89 offset0:128 offset1:160
	;; [unrolled: 1-line block ×3, first 2 shown]
	ds_load_2addr_b64 v[144:147], v83 offset1:32
	ds_load_2addr_b64 v[148:151], v83 offset0:64 offset1:96
	ds_load_2addr_b64 v[152:155], v83 offset0:128 offset1:160
	ds_load_b128 v[156:159], v78 offset:224
	ds_load_b128 v[160:163], v78 offset:240
	ds_load_2addr_b64 v[164:167], v83 offset0:192 offset1:224
	s_wait_dscnt 0x0
	s_barrier_signal -1
	s_barrier_wait -1
	s_clause 0x3
	global_load_b128 v[168:171], v[4:5], off
	global_load_b128 v[172:175], v[8:9], off
	;; [unrolled: 1-line block ×4, first 2 shown]
	s_wait_xcnt 0x3
	v_mul_u32_u24_e32 v4, 0x10001, v199
	v_mul_u32_u24_e32 v5, 0x10001, v200
	s_wait_xcnt 0x2
	v_pk_fma_f16 v9, v11, v186, v187
	v_pk_fma_f16 v11, v12, v203, v188
	v_and_b32_e32 v188, 0xffff, v6
	s_wait_xcnt 0x1
	v_pk_fma_f16 v92, v12, v4, v189
	v_lshrrev_b32_e32 v6, 16, v6
	v_mul_u32_u24_e32 v8, 0x10001, v201
	v_and_b32_e32 v189, 0xffff, v7
	v_lshrrev_b32_e32 v7, 16, v7
	v_pk_fma_f16 v93, v12, v5, v190
	s_wait_xcnt 0x0
	v_pk_fma_f16 v184, v13, v203, v192
	v_pk_fma_f16 v12, v12, v8, v191
	;; [unrolled: 1-line block ×10, first 2 shown]
	v_mul_u32_u24_e32 v188, 0x10001, v188
	v_mul_u32_u24_e32 v6, 0x10001, v6
	;; [unrolled: 1-line block ×4, first 2 shown]
	v_pk_fma_f16 v14, v15, v203, v197
	v_pk_fma_f16 v5, v15, v5, v202
	;; [unrolled: 1-line block ×16, first 2 shown]
	v_and_b32_e32 v6, 0xffff, v100
	v_lshrrev_b32_e32 v22, 16, v100
	v_and_b32_e32 v100, 0xffff, v101
	v_lshrrev_b32_e32 v101, 16, v101
	v_pk_fma_f16 v14, v23, v188, v14
	v_mul_u32_u24_e32 v6, 0x10001, v6
	v_mul_u32_u24_e32 v22, 0x10001, v22
	;; [unrolled: 1-line block ×4, first 2 shown]
	v_pk_fma_f16 v7, v23, v7, v8
	v_pk_fma_f16 v8, v16, v6, v9
	;; [unrolled: 1-line block ×11, first 2 shown]
	v_and_b32_e32 v14, 0xffff, v102
	v_pk_fma_f16 v5, v23, v189, v5
	v_pk_fma_f16 v21, v18, v22, v91
	;; [unrolled: 1-line block ×5, first 2 shown]
	v_lshrrev_b32_e32 v18, 16, v102
	v_and_b32_e32 v22, 0xffff, v103
	v_mul_u32_u24_e32 v14, 0x10001, v14
	v_lshrrev_b32_e32 v91, 16, v103
	v_pk_fma_f16 v5, v19, v100, v5
	v_mul_u32_u24_e32 v18, 0x10001, v18
	v_mul_u32_u24_e32 v22, 0x10001, v22
	v_pk_fma_f16 v8, v108, v14, v8
	v_pk_fma_f16 v15, v109, v14, v15
	;; [unrolled: 1-line block ×4, first 2 shown]
	v_and_b32_e32 v14, 0xffff, v104
	v_pk_fma_f16 v7, v19, v101, v7
	v_pk_fma_f16 v9, v108, v18, v9
	;; [unrolled: 1-line block ×6, first 2 shown]
	v_lshrrev_b32_e32 v18, 16, v104
	v_mul_u32_u24_e32 v91, 0x10001, v91
	v_mul_u32_u24_e32 v14, 0x10001, v14
	v_pk_fma_f16 v21, v110, v22, v23
	v_and_b32_e32 v23, 0xffff, v105
	v_lshrrev_b32_e32 v92, 16, v105
	v_pk_fma_f16 v12, v108, v91, v12
	v_pk_fma_f16 v13, v109, v91, v13
	;; [unrolled: 1-line block ×3, first 2 shown]
	v_mul_u32_u24_e32 v18, 0x10001, v18
	v_pk_fma_f16 v7, v111, v91, v7
	v_pk_fma_f16 v8, v112, v14, v8
	;; [unrolled: 1-line block ×5, first 2 shown]
	v_and_b32_e32 v14, 0xffff, v106
	v_lshrrev_b32_e32 v91, 16, v106
	v_pk_fma_f16 v11, v108, v22, v11
	v_pk_fma_f16 v5, v111, v22, v5
	v_mul_u32_u24_e32 v22, 0x10001, v23
	v_mul_u32_u24_e32 v23, 0x10001, v92
	v_pk_fma_f16 v9, v112, v18, v9
	v_pk_fma_f16 v16, v113, v18, v16
	;; [unrolled: 1-line block ×4, first 2 shown]
	v_mul_u32_u24_e32 v14, 0x10001, v14
	v_mul_u32_u24_e32 v18, 0x10001, v91
	v_pk_fma_f16 v12, v112, v23, v12
	v_pk_fma_f16 v13, v113, v23, v13
	;; [unrolled: 1-line block ×4, first 2 shown]
	v_lshrrev_b32_e32 v23, 16, v107
	v_pk_fma_f16 v8, v116, v14, v8
	v_pk_fma_f16 v9, v116, v18, v9
	;; [unrolled: 1-line block ×8, first 2 shown]
	v_and_b32_e32 v14, 0xffff, v124
	v_lshrrev_b32_e32 v18, 16, v124
	v_and_b32_e32 v92, 0xffff, v107
	v_lshrrev_b32_e32 v91, 16, v125
	v_pk_fma_f16 v11, v112, v22, v11
	v_mul_u32_u24_e32 v14, 0x10001, v14
	v_mul_u32_u24_e32 v18, 0x10001, v18
	v_pk_fma_f16 v19, v113, v22, v19
	v_pk_fma_f16 v21, v114, v22, v21
	;; [unrolled: 1-line block ×11, first 2 shown]
	v_and_b32_e32 v14, 0xffff, v126
	v_lshrrev_b32_e32 v18, 16, v126
	v_mul_u32_u24_e32 v22, 0x10001, v92
	v_mul_u32_u24_e32 v23, 0x10001, v23
	v_lshrrev_b32_e32 v25, 16, v129
	v_mul_u32_u24_e32 v14, 0x10001, v14
	v_mul_u32_u24_e32 v18, 0x10001, v18
	v_pk_fma_f16 v11, v116, v22, v11
	v_pk_fma_f16 v19, v117, v22, v19
	;; [unrolled: 1-line block ×6, first 2 shown]
	v_and_b32_e32 v22, 0xffff, v125
	v_pk_fma_f16 v10, v118, v23, v10
	v_pk_fma_f16 v7, v119, v23, v7
	v_lshrrev_b32_e32 v23, 16, v127
	v_pk_fma_f16 v8, v132, v14, v8
	v_pk_fma_f16 v9, v132, v18, v9
	;; [unrolled: 1-line block ×8, first 2 shown]
	v_and_b32_e32 v14, 0xffff, v128
	v_lshrrev_b32_e32 v18, 16, v128
	v_mul_u32_u24_e32 v22, 0x10001, v22
	v_mul_u32_u24_e32 v91, 0x10001, v91
	v_and_b32_e32 v24, 0xffff, v129
	v_mul_u32_u24_e32 v14, 0x10001, v14
	v_mul_u32_u24_e32 v18, 0x10001, v18
	v_pk_fma_f16 v11, v120, v22, v11
	v_pk_fma_f16 v19, v121, v22, v19
	;; [unrolled: 1-line block ×4, first 2 shown]
	v_and_b32_e32 v22, 0xffff, v127
	v_pk_fma_f16 v8, v136, v14, v8
	v_pk_fma_f16 v9, v136, v18, v9
	;; [unrolled: 1-line block ×8, first 2 shown]
	v_and_b32_e32 v14, 0xffff, v130
	v_lshrrev_b32_e32 v18, 16, v130
	v_mul_u32_u24_e32 v22, 0x10001, v22
	v_pk_fma_f16 v12, v120, v91, v12
	v_pk_fma_f16 v13, v121, v91, v13
	v_mul_u32_u24_e32 v14, 0x10001, v14
	v_mul_u32_u24_e32 v18, 0x10001, v18
	v_pk_fma_f16 v10, v122, v91, v10
	v_pk_fma_f16 v7, v123, v91, v7
	v_mul_u32_u24_e32 v23, 0x10001, v23
	v_pk_fma_f16 v11, v132, v22, v11
	v_pk_fma_f16 v19, v133, v22, v19
	;; [unrolled: 1-line block ×4, first 2 shown]
	v_mul_u32_u24_e32 v22, 0x10001, v24
	v_mul_u32_u24_e32 v24, 0x10001, v25
	v_lshrrev_b32_e32 v25, 16, v131
	v_pk_fma_f16 v8, v140, v14, v8
	v_pk_fma_f16 v9, v140, v18, v9
	;; [unrolled: 1-line block ×8, first 2 shown]
	v_and_b32_e32 v14, 0xffff, v156
	v_lshrrev_b32_e32 v18, 16, v156
	v_pk_fma_f16 v12, v132, v23, v12
	v_pk_fma_f16 v13, v133, v23, v13
	;; [unrolled: 1-line block ×4, first 2 shown]
	v_and_b32_e32 v23, 0xffff, v131
	v_mul_u32_u24_e32 v14, 0x10001, v14
	v_mul_u32_u24_e32 v18, 0x10001, v18
	v_pk_fma_f16 v11, v136, v22, v11
	v_pk_fma_f16 v19, v137, v22, v19
	;; [unrolled: 1-line block ×4, first 2 shown]
	v_mul_u32_u24_e32 v22, 0x10001, v23
	v_mul_u32_u24_e32 v23, 0x10001, v25
	v_lshrrev_b32_e32 v25, 16, v157
	v_pk_fma_f16 v8, v144, v14, v8
	v_pk_fma_f16 v9, v144, v18, v9
	v_pk_fma_f16 v15, v145, v14, v15
	v_pk_fma_f16 v16, v145, v18, v16
	v_pk_fma_f16 v17, v146, v14, v17
	v_pk_fma_f16 v20, v146, v18, v20
	v_pk_fma_f16 v6, v147, v14, v6
	v_pk_fma_f16 v4, v147, v18, v4
	v_and_b32_e32 v14, 0xffff, v158
	v_lshrrev_b32_e32 v18, 16, v158
	v_pk_fma_f16 v12, v136, v24, v12
	v_pk_fma_f16 v13, v137, v24, v13
	;; [unrolled: 1-line block ×4, first 2 shown]
	v_and_b32_e32 v24, 0xffff, v157
	v_mul_u32_u24_e32 v14, 0x10001, v14
	v_mul_u32_u24_e32 v18, 0x10001, v18
	v_pk_fma_f16 v11, v140, v22, v11
	v_pk_fma_f16 v12, v140, v23, v12
	;; [unrolled: 1-line block ×7, first 2 shown]
	v_mul_u32_u24_e32 v22, 0x10001, v24
	v_mul_u32_u24_e32 v24, 0x10001, v25
	v_pk_fma_f16 v7, v143, v23, v7
	v_and_b32_e32 v23, 0xffff, v159
	v_lshrrev_b32_e32 v25, 16, v159
	v_pk_fma_f16 v8, v148, v14, v8
	v_pk_fma_f16 v9, v148, v18, v9
	;; [unrolled: 1-line block ×8, first 2 shown]
	v_and_b32_e32 v14, 0xffff, v160
	v_lshrrev_b32_e32 v18, 16, v160
	v_pk_fma_f16 v11, v144, v22, v11
	v_pk_fma_f16 v12, v144, v24, v12
	;; [unrolled: 1-line block ×7, first 2 shown]
	v_mul_u32_u24_e32 v22, 0x10001, v23
	v_mul_u32_u24_e32 v23, 0x10001, v25
	v_pk_fma_f16 v7, v147, v24, v7
	v_and_b32_e32 v24, 0xffff, v161
	v_mul_u32_u24_e32 v14, 0x10001, v14
	v_mul_u32_u24_e32 v18, 0x10001, v18
	v_pk_fma_f16 v11, v148, v22, v11
	v_pk_fma_f16 v12, v148, v23, v12
	;; [unrolled: 1-line block ×6, first 2 shown]
	v_lshrrev_b32_e32 v25, 16, v161
	v_pk_fma_f16 v5, v151, v22, v5
	v_mul_u32_u24_e32 v22, 0x10001, v24
	v_pk_fma_f16 v23, v151, v23, v7
	v_pk_fma_f16 v8, v152, v14, v8
	;; [unrolled: 1-line block ×9, first 2 shown]
	v_and_b32_e32 v4, 0xffff, v162
	v_lshrrev_b32_e32 v6, 16, v162
	v_and_b32_e32 v7, 0xffff, v163
	v_mul_u32_u24_e32 v24, 0x10001, v25
	v_pk_fma_f16 v11, v152, v22, v11
	v_pk_fma_f16 v19, v153, v22, v19
	;; [unrolled: 1-line block ×4, first 2 shown]
	v_mul_u32_u24_e32 v26, 0x10001, v4
	v_mul_u32_u24_e32 v27, 0x10001, v6
	;; [unrolled: 1-line block ×3, first 2 shown]
	s_wait_loadcnt 0x3
	ds_store_b128 v79, v[168:171]
	s_wait_loadcnt 0x2
	ds_store_b128 v80, v[172:175]
	;; [unrolled: 2-line block ×4, first 2 shown]
	s_wait_dscnt 0x0
	s_barrier_signal -1
	s_barrier_wait -1
	ds_load_b128 v[4:7], v78 offset:256
	v_pk_fma_f16 v25, v154, v24, v10
	v_lshrrev_b32_e32 v10, 16, v163
	v_pk_fma_f16 v12, v152, v24, v12
	v_pk_fma_f16 v13, v153, v24, v13
	;; [unrolled: 1-line block ×4, first 2 shown]
	v_mul_u32_u24_e32 v92, 0x10001, v10
	v_pk_fma_f16 v93, v164, v27, v9
	v_pk_fma_f16 v94, v164, v91, v11
	ds_load_2addr_b64 v[8:11], v90 offset1:32
	v_pk_fma_f16 v101, v165, v26, v15
	v_pk_fma_f16 v100, v164, v92, v12
	;; [unrolled: 1-line block ×5, first 2 shown]
	ds_load_b128 v[12:15], v78 offset:272
	v_pk_fma_f16 v105, v166, v26, v17
	v_pk_fma_f16 v103, v165, v91, v19
	;; [unrolled: 1-line block ×3, first 2 shown]
	s_wait_dscnt 0x2
	v_and_b32_e32 v16, 0xffff, v4
	v_lshrrev_b32_e32 v4, 16, v4
	v_and_b32_e32 v17, 0xffff, v5
	v_lshrrev_b32_e32 v5, 16, v5
	v_pk_fma_f16 v107, v166, v91, v21
	v_mul_u32_u24_e32 v111, 0x10001, v16
	v_pk_fma_f16 v108, v166, v92, v25
	v_pk_fma_f16 v110, v167, v27, v18
	;; [unrolled: 1-line block ×4, first 2 shown]
	v_mul_u32_u24_e32 v4, 0x10001, v4
	v_mul_u32_u24_e32 v112, 0x10001, v17
	;; [unrolled: 1-line block ×3, first 2 shown]
	ds_load_b128 v[16:19], v78 offset:288
	ds_load_b128 v[20:23], v78 offset:304
	s_wait_dscnt 0x3
	v_pk_fma_f16 v113, v8, v111, v24
	ds_load_2addr_b64 v[24:27], v90 offset0:64 offset1:96
	v_pk_fma_f16 v93, v8, v4, v93
	v_pk_fma_f16 v94, v8, v112, v94
	;; [unrolled: 1-line block ×12, first 2 shown]
	v_and_b32_e32 v4, 0xffff, v6
	v_lshrrev_b32_e32 v6, 16, v6
	v_and_b32_e32 v108, 0xffff, v7
	v_lshrrev_b32_e32 v7, 16, v7
	v_pk_fma_f16 v106, v11, v111, v109
	v_pk_fma_f16 v91, v11, v112, v91
	v_mul_u32_u24_e32 v109, 0x10001, v4
	v_mul_u32_u24_e32 v110, 0x10001, v6
	;; [unrolled: 1-line block ×3, first 2 shown]
	v_pk_fma_f16 v11, v11, v5, v92
	ds_load_2addr_b64 v[4:7], v90 offset0:128 offset1:160
	v_mul_u32_u24_e32 v108, 0x10001, v108
	s_wait_dscnt 0x1
	v_pk_fma_f16 v92, v24, v109, v113
	v_pk_fma_f16 v93, v24, v110, v93
	;; [unrolled: 1-line block ×3, first 2 shown]
	s_or_b32 s24, s4, 64
	v_pk_fma_f16 v94, v24, v108, v94
	v_pk_fma_f16 v24, v25, v109, v100
	;; [unrolled: 1-line block ×9, first 2 shown]
	v_and_b32_e32 v9, 0xffff, v12
	v_lshrrev_b32_e32 v10, 16, v12
	v_and_b32_e32 v12, 0xffff, v13
	v_lshrrev_b32_e32 v13, 16, v13
	v_pk_fma_f16 v105, v27, v109, v106
	v_pk_fma_f16 v106, v27, v110, v107
	;; [unrolled: 1-line block ×3, first 2 shown]
	v_mul_u32_u24_e32 v107, 0x10001, v9
	v_mul_u32_u24_e32 v108, 0x10001, v10
	;; [unrolled: 1-line block ×4, first 2 shown]
	v_pk_fma_f16 v27, v27, v111, v11
	s_wait_dscnt 0x0
	v_pk_fma_f16 v92, v4, v107, v92
	v_pk_fma_f16 v93, v4, v108, v93
	;; [unrolled: 1-line block ×4, first 2 shown]
	ds_load_2addr_b64 v[8:11], v90 offset0:192 offset1:224
	v_pk_fma_f16 v24, v5, v107, v24
	v_pk_fma_f16 v100, v5, v108, v100
	;; [unrolled: 1-line block ×8, first 2 shown]
	v_and_b32_e32 v5, 0xffff, v14
	v_lshrrev_b32_e32 v6, 16, v14
	v_and_b32_e32 v14, 0xffff, v15
	v_lshrrev_b32_e32 v15, 16, v15
	v_pk_fma_f16 v105, v7, v107, v105
	v_pk_fma_f16 v12, v7, v12, v91
	v_mul_u32_u24_e32 v91, 0x10001, v5
	v_mul_u32_u24_e32 v107, 0x10001, v6
	;; [unrolled: 1-line block ×4, first 2 shown]
	v_pk_fma_f16 v106, v7, v108, v106
	v_pk_fma_f16 v13, v7, v13, v27
	s_wait_dscnt 0x0
	v_pk_fma_f16 v27, v8, v91, v92
	v_pk_fma_f16 v92, v8, v107, v93
	;; [unrolled: 1-line block ×4, first 2 shown]
	ds_load_2addr_b64 v[4:7], v88 offset1:32
	v_pk_fma_f16 v24, v9, v91, v24
	v_pk_fma_f16 v94, v9, v107, v100
	;; [unrolled: 1-line block ×8, first 2 shown]
	v_and_b32_e32 v9, 0xffff, v16
	v_lshrrev_b32_e32 v10, 16, v16
	v_and_b32_e32 v16, 0xffff, v17
	v_lshrrev_b32_e32 v17, 16, v17
	v_pk_fma_f16 v91, v11, v91, v105
	v_pk_fma_f16 v12, v11, v14, v12
	v_mul_u32_u24_e32 v14, 0x10001, v9
	v_mul_u32_u24_e32 v105, 0x10001, v10
	;; [unrolled: 1-line block ×4, first 2 shown]
	v_pk_fma_f16 v104, v11, v107, v106
	v_pk_fma_f16 v13, v11, v15, v13
	s_wait_dscnt 0x0
	v_pk_fma_f16 v15, v4, v14, v27
	v_pk_fma_f16 v27, v4, v105, v92
	;; [unrolled: 1-line block ×4, first 2 shown]
	ds_load_2addr_b64 v[8:11], v88 offset0:64 offset1:96
	v_pk_fma_f16 v24, v5, v14, v24
	v_pk_fma_f16 v93, v5, v105, v94
	;; [unrolled: 1-line block ×8, first 2 shown]
	v_and_b32_e32 v5, 0xffff, v18
	v_lshrrev_b32_e32 v6, 16, v18
	v_and_b32_e32 v18, 0xffff, v19
	v_lshrrev_b32_e32 v19, 16, v19
	v_pk_fma_f16 v12, v7, v16, v12
	v_mul_u32_u24_e32 v16, 0x10001, v5
	v_mul_u32_u24_e32 v103, 0x10001, v6
	;; [unrolled: 1-line block ×4, first 2 shown]
	v_pk_fma_f16 v14, v7, v14, v91
	v_pk_fma_f16 v91, v7, v105, v104
	;; [unrolled: 1-line block ×3, first 2 shown]
	s_wait_dscnt 0x0
	v_pk_fma_f16 v15, v8, v16, v15
	v_pk_fma_f16 v17, v8, v103, v27
	;; [unrolled: 1-line block ×4, first 2 shown]
	ds_load_2addr_b64 v[4:7], v88 offset0:128 offset1:160
	v_pk_fma_f16 v24, v9, v16, v24
	v_pk_fma_f16 v92, v9, v103, v93
	;; [unrolled: 1-line block ×8, first 2 shown]
	v_and_b32_e32 v9, 0xffff, v20
	v_lshrrev_b32_e32 v10, 16, v20
	v_and_b32_e32 v20, 0xffff, v21
	v_lshrrev_b32_e32 v21, 16, v21
	v_pk_fma_f16 v14, v11, v16, v14
	v_pk_fma_f16 v16, v11, v103, v91
	;; [unrolled: 1-line block ×3, first 2 shown]
	v_mul_u32_u24_e32 v18, 0x10001, v9
	v_mul_u32_u24_e32 v91, 0x10001, v10
	;; [unrolled: 1-line block ×4, first 2 shown]
	v_pk_fma_f16 v19, v11, v19, v13
	s_wait_dscnt 0x0
	v_pk_fma_f16 v102, v4, v18, v15
	v_pk_fma_f16 v17, v4, v91, v17
	;; [unrolled: 1-line block ×4, first 2 shown]
	ds_load_2addr_b64 v[8:11], v88 offset0:192 offset1:224
	v_pk_fma_f16 v24, v5, v18, v24
	v_pk_fma_f16 v92, v5, v91, v92
	;; [unrolled: 1-line block ×8, first 2 shown]
	v_and_b32_e32 v5, 0xffff, v22
	v_lshrrev_b32_e32 v6, 16, v22
	v_pk_fma_f16 v18, v7, v18, v14
	v_pk_fma_f16 v16, v7, v91, v16
	;; [unrolled: 1-line block ×3, first 2 shown]
	v_mul_u32_u24_e32 v91, 0x10001, v5
	v_mul_u32_u24_e32 v103, 0x10001, v6
	v_and_b32_e32 v22, 0xffff, v23
	ds_load_b128 v[12:15], v78 offset:320
	v_pk_fma_f16 v21, v7, v21, v19
	s_ashr_i32 s25, s24, 31
	s_wait_dscnt 0x1
	v_pk_fma_f16 v102, v8, v91, v102
	v_pk_fma_f16 v104, v8, v103, v17
	;; [unrolled: 1-line block ×8, first 2 shown]
	ds_load_b128 v[16:19], v78 offset:336
	v_lshrrev_b32_e32 v23, 16, v23
	v_mul_u32_u24_e32 v22, 0x10001, v22
	s_mul_u64 s[24:25], s[24:25], s[10:11]
	v_pk_fma_f32 v[36:37], v[36:37], v[28:29], v[30:31]
	s_lshl_b64 s[24:25], s[24:25], 2
	v_mul_u32_u24_e32 v23, 0x10001, v23
	v_pk_fma_f16 v27, v8, v22, v27
	v_pk_fma_f16 v93, v9, v22, v93
	;; [unrolled: 1-line block ×5, first 2 shown]
	ds_load_2addr_b64 v[4:7], v84 offset1:32
	v_pk_fma_f16 v25, v9, v23, v25
	v_pk_fma_f16 v26, v10, v23, v26
	s_wait_dscnt 0x2
	v_and_b32_e32 v9, 0xffff, v12
	v_lshrrev_b32_e32 v10, 16, v12
	v_and_b32_e32 v12, 0xffff, v13
	v_lshrrev_b32_e32 v13, 16, v13
	v_pk_fma_f16 v21, v11, v23, v21
	v_mul_u32_u24_e32 v22, 0x10001, v9
	v_mul_u32_u24_e32 v105, 0x10001, v10
	;; [unrolled: 1-line block ×4, first 2 shown]
	s_add_nc_u64 s[24:25], s[8:9], s[24:25]
	s_delay_alu instid0(SALU_CYCLE_1)
	v_add_nc_u64_e32 v[164:165], s[24:25], v[56:57]
	s_wait_dscnt 0x0
	v_pk_fma_f16 v23, v4, v22, v102
	v_pk_fma_f16 v102, v4, v105, v104
	;; [unrolled: 1-line block ×4, first 2 shown]
	ds_load_2addr_b64 v[8:11], v84 offset0:64 offset1:96
	v_pk_fma_f16 v24, v5, v22, v24
	v_pk_fma_f16 v92, v5, v105, v92
	;; [unrolled: 1-line block ×8, first 2 shown]
	v_and_b32_e32 v5, 0xffff, v14
	v_lshrrev_b32_e32 v6, 16, v14
	v_and_b32_e32 v14, 0xffff, v15
	v_lshrrev_b32_e32 v15, 16, v15
	v_pk_fma_f16 v22, v7, v22, v91
	v_pk_fma_f16 v91, v7, v105, v103
	;; [unrolled: 1-line block ×3, first 2 shown]
	v_mul_u32_u24_e32 v20, 0x10001, v5
	v_mul_u32_u24_e32 v103, 0x10001, v6
	;; [unrolled: 1-line block ×4, first 2 shown]
	v_pk_fma_f16 v13, v7, v13, v21
	s_wait_dscnt 0x0
	v_pk_fma_f16 v21, v8, v20, v23
	v_pk_fma_f16 v23, v8, v103, v102
	;; [unrolled: 1-line block ×4, first 2 shown]
	ds_load_2addr_b64 v[4:7], v84 offset0:128 offset1:160
	v_pk_fma_f16 v24, v9, v20, v24
	v_pk_fma_f16 v92, v9, v103, v92
	v_pk_fma_f16 v93, v9, v14, v93
	v_pk_fma_f16 v25, v9, v15, v25
	v_pk_fma_f16 v94, v10, v20, v94
	v_pk_fma_f16 v100, v10, v103, v100
	v_pk_fma_f16 v101, v10, v14, v101
	v_pk_fma_f16 v26, v10, v15, v26
	v_and_b32_e32 v9, 0xffff, v16
	v_lshrrev_b32_e32 v10, 16, v16
	v_and_b32_e32 v16, 0xffff, v17
	v_lshrrev_b32_e32 v17, 16, v17
	v_pk_fma_f16 v20, v11, v20, v22
	v_pk_fma_f16 v22, v11, v103, v91
	;; [unrolled: 1-line block ×3, first 2 shown]
	v_mul_u32_u24_e32 v14, 0x10001, v9
	v_mul_u32_u24_e32 v91, 0x10001, v10
	;; [unrolled: 1-line block ×4, first 2 shown]
	v_pk_fma_f16 v102, v11, v15, v13
	s_wait_dscnt 0x0
	v_pk_fma_f16 v21, v4, v14, v21
	v_pk_fma_f16 v23, v4, v91, v23
	;; [unrolled: 1-line block ×4, first 2 shown]
	ds_load_2addr_b64 v[8:11], v84 offset0:192 offset1:224
	v_pk_fma_f16 v24, v5, v14, v24
	v_pk_fma_f16 v92, v5, v91, v92
	;; [unrolled: 1-line block ×10, first 2 shown]
	v_and_b32_e32 v5, 0xffff, v18
	v_lshrrev_b32_e32 v6, 16, v18
	v_pk_fma_f16 v91, v7, v16, v12
	v_and_b32_e32 v16, 0xffff, v19
	ds_load_b128 v[12:15], v78 offset:352
	v_lshrrev_b32_e32 v18, 16, v19
	v_mul_u32_u24_e32 v19, 0x10001, v5
	v_mul_u32_u24_e32 v103, 0x10001, v6
	;; [unrolled: 1-line block ×3, first 2 shown]
	v_pk_fma_f16 v102, v7, v17, v102
	v_mul_u32_u24_e32 v105, 0x10001, v18
	s_wait_dscnt 0x1
	v_pk_fma_f16 v21, v8, v19, v21
	v_pk_fma_f16 v23, v8, v103, v23
	;; [unrolled: 1-line block ×5, first 2 shown]
	ds_load_2addr_b64 v[4:7], v85 offset1:32
	v_pk_fma_f16 v92, v9, v103, v92
	v_pk_fma_f16 v93, v9, v104, v93
	;; [unrolled: 1-line block ×8, first 2 shown]
	ds_load_b128 v[16:19], v78 offset:368
	s_wait_dscnt 0x2
	v_and_b32_e32 v9, 0xffff, v12
	v_lshrrev_b32_e32 v10, 16, v12
	v_and_b32_e32 v12, 0xffff, v13
	v_lshrrev_b32_e32 v13, 16, v13
	v_pk_fma_f16 v22, v11, v103, v22
	v_pk_fma_f16 v91, v11, v104, v91
	v_mul_u32_u24_e32 v103, 0x10001, v9
	v_mul_u32_u24_e32 v104, 0x10001, v10
	;; [unrolled: 1-line block ×4, first 2 shown]
	v_pk_fma_f16 v102, v11, v105, v102
	s_wait_dscnt 0x1
	v_pk_fma_f16 v21, v4, v103, v21
	v_pk_fma_f16 v23, v4, v104, v23
	;; [unrolled: 1-line block ×4, first 2 shown]
	ds_load_2addr_b64 v[8:11], v85 offset0:64 offset1:96
	v_pk_fma_f16 v24, v5, v103, v24
	v_pk_fma_f16 v92, v5, v104, v92
	;; [unrolled: 1-line block ×8, first 2 shown]
	v_and_b32_e32 v5, 0xffff, v14
	v_lshrrev_b32_e32 v6, 16, v14
	v_and_b32_e32 v14, 0xffff, v15
	v_lshrrev_b32_e32 v15, 16, v15
	v_pk_fma_f16 v20, v7, v103, v20
	v_pk_fma_f16 v12, v7, v12, v91
	v_mul_u32_u24_e32 v91, 0x10001, v5
	v_mul_u32_u24_e32 v103, 0x10001, v6
	v_mul_u32_u24_e32 v14, 0x10001, v14
	v_mul_u32_u24_e32 v15, 0x10001, v15
	v_pk_fma_f16 v22, v7, v104, v22
	v_pk_fma_f16 v13, v7, v13, v102
	s_wait_dscnt 0x0
	v_pk_fma_f16 v21, v8, v91, v21
	v_pk_fma_f16 v23, v8, v103, v23
	;; [unrolled: 1-line block ×4, first 2 shown]
	ds_load_2addr_b64 v[4:7], v85 offset0:128 offset1:160
	v_pk_fma_f16 v24, v9, v91, v24
	v_pk_fma_f16 v92, v9, v103, v92
	;; [unrolled: 1-line block ×8, first 2 shown]
	v_and_b32_e32 v9, 0xffff, v16
	v_lshrrev_b32_e32 v10, 16, v16
	v_and_b32_e32 v16, 0xffff, v17
	v_lshrrev_b32_e32 v17, 16, v17
	v_pk_fma_f16 v20, v11, v91, v20
	v_pk_fma_f16 v12, v11, v14, v12
	v_mul_u32_u24_e32 v14, 0x10001, v9
	v_mul_u32_u24_e32 v91, 0x10001, v10
	;; [unrolled: 1-line block ×4, first 2 shown]
	v_pk_fma_f16 v22, v11, v103, v22
	v_pk_fma_f16 v102, v11, v15, v13
	s_wait_dscnt 0x0
	v_pk_fma_f16 v21, v4, v14, v21
	v_pk_fma_f16 v24, v5, v14, v24
	;; [unrolled: 1-line block ×7, first 2 shown]
	v_and_b32_e32 v13, 0xffff, v18
	v_lshrrev_b32_e32 v14, 16, v18
	v_pk_fma_f16 v23, v4, v91, v23
	v_pk_fma_f16 v27, v4, v16, v27
	;; [unrolled: 1-line block ×3, first 2 shown]
	ds_load_2addr_b64 v[8:11], v85 offset0:192 offset1:224
	v_pk_fma_f16 v94, v6, v91, v100
	v_pk_fma_f16 v100, v6, v16, v101
	;; [unrolled: 1-line block ×5, first 2 shown]
	v_mul_u32_u24_e32 v91, 0x10001, v13
	v_mul_u32_u24_e32 v101, 0x10001, v14
	ds_load_b128 v[12:15], v78 offset:384
	v_and_b32_e32 v16, 0xffff, v19
	v_lshrrev_b32_e32 v18, 16, v19
	v_pk_fma_f16 v102, v7, v17, v102
	v_add_nc_u64_e32 v[180:181], v[164:165], v[42:43]
	s_delay_alu instid0(VALU_DEP_4) | instskip(NEXT) | instid1(VALU_DEP_4)
	v_mul_u32_u24_e32 v103, 0x10001, v16
	v_mul_u32_u24_e32 v104, 0x10001, v18
	ds_load_2addr_b64 v[16:19], v86 offset1:32
	s_wait_dscnt 0x2
	v_pk_fma_f16 v21, v8, v91, v21
	v_pk_fma_f16 v23, v8, v101, v23
	;; [unrolled: 1-line block ×9, first 2 shown]
	ds_load_b128 v[4:7], v78 offset:400
	s_wait_dscnt 0x2
	v_and_b32_e32 v9, 0xffff, v12
	v_pk_fma_f16 v25, v10, v91, v25
	v_pk_fma_f16 v94, v10, v101, v94
	;; [unrolled: 1-line block ×4, first 2 shown]
	v_lshrrev_b32_e32 v10, 16, v12
	v_and_b32_e32 v12, 0xffff, v13
	v_lshrrev_b32_e32 v13, 16, v13
	v_mul_u32_u24_e32 v91, 0x10001, v9
	v_pk_fma_f16 v22, v11, v101, v22
	v_mul_u32_u24_e32 v101, 0x10001, v10
	v_mul_u32_u24_e32 v12, 0x10001, v12
	v_pk_fma_f16 v26, v11, v103, v26
	s_wait_dscnt 0x1
	v_pk_fma_f16 v21, v16, v91, v21
	v_pk_fma_f16 v24, v17, v91, v24
	;; [unrolled: 1-line block ×4, first 2 shown]
	v_and_b32_e32 v91, 0xffff, v14
	v_lshrrev_b32_e32 v14, 16, v14
	v_mul_u32_u24_e32 v13, 0x10001, v13
	v_pk_fma_f16 v102, v11, v104, v102
	v_pk_fma_f16 v23, v16, v101, v23
	;; [unrolled: 1-line block ×5, first 2 shown]
	ds_load_2addr_b64 v[8:11], v86 offset0:64 offset1:96
	v_pk_fma_f16 v94, v18, v101, v94
	v_pk_fma_f16 v22, v19, v101, v22
	v_and_b32_e32 v101, 0xffff, v15
	v_lshrrev_b32_e32 v15, 16, v15
	v_mul_u32_u24_e32 v91, 0x10001, v91
	v_mul_u32_u24_e32 v103, 0x10001, v14
	v_pk_fma_f16 v93, v17, v12, v93
	v_mul_u32_u24_e32 v101, 0x10001, v101
	v_mul_u32_u24_e32 v182, 0x10001, v15
	v_pk_fma_f16 v17, v17, v13, v105
	s_wait_dscnt 0x1
	v_and_b32_e32 v195, 0xffff, v5
	v_lshrrev_b32_e32 v196, 16, v5
	v_pk_fma_f16 v100, v18, v12, v100
	v_pk_fma_f16 v18, v18, v13, v106
	;; [unrolled: 1-line block ×4, first 2 shown]
	ds_load_2addr_b64 v[12:15], v86 offset0:128 offset1:160
	s_wait_dscnt 0x1
	v_pk_fma_f16 v184, v8, v91, v21
	v_pk_fma_f16 v185, v8, v103, v23
	;; [unrolled: 1-line block ×4, first 2 shown]
	v_and_b32_e32 v8, 0xffff, v4
	v_lshrrev_b32_e32 v4, 16, v4
	v_pk_fma_f16 v188, v9, v91, v24
	v_pk_fma_f16 v189, v9, v103, v92
	;; [unrolled: 1-line block ×4, first 2 shown]
	v_mul_u32_u24_e32 v199, 0x10001, v4
	v_add_nc_u64_e32 v[4:5], s[24:25], v[50:51]
	v_mul_u32_u24_e32 v198, 0x10001, v8
	v_add_nc_u64_e32 v[8:9], s[24:25], v[52:53]
	v_add_nc_u64_e32 v[92:93], s[24:25], v[54:55]
	v_pk_fma_f16 v192, v10, v91, v25
	v_pk_fma_f16 v94, v10, v103, v94
	;; [unrolled: 1-line block ×3, first 2 shown]
	v_add_nc_u64_e32 v[4:5], v[4:5], v[42:43]
	v_pk_fma_f16 v10, v10, v182, v18
	v_add_nc_u64_e32 v[8:9], v[8:9], v[42:43]
	v_add_nc_u64_e32 v[92:93], v[92:93], v[42:43]
	v_pk_fma_f16 v91, v11, v91, v20
	v_pk_fma_f16 v194, v11, v103, v22
	;; [unrolled: 1-line block ×3, first 2 shown]
	ds_load_2addr_b64 v[16:19], v86 offset0:192 offset1:224
	ds_load_2addr_b64 v[20:23], v87 offset1:32
	ds_load_b128 v[24:27], v78 offset:416
	ds_load_b128 v[100:103], v78 offset:432
	ds_load_2addr_b64 v[104:107], v87 offset0:64 offset1:96
	ds_load_2addr_b64 v[108:111], v87 offset0:128 offset1:160
	;; [unrolled: 1-line block ×3, first 2 shown]
	ds_load_2addr_b64 v[116:119], v89 offset1:32
	ds_load_2addr_b64 v[120:123], v89 offset0:64 offset1:96
	ds_load_2addr_b64 v[124:127], v89 offset0:128 offset1:160
	ds_load_b128 v[128:131], v78 offset:448
	ds_load_b128 v[132:135], v78 offset:464
	ds_load_2addr_b64 v[136:139], v89 offset0:192 offset1:224
	ds_load_2addr_b64 v[140:143], v83 offset1:32
	ds_load_2addr_b64 v[144:147], v83 offset0:64 offset1:96
	ds_load_2addr_b64 v[148:151], v83 offset0:128 offset1:160
	ds_load_b128 v[152:155], v78 offset:480
	ds_load_b128 v[156:159], v78 offset:496
	ds_load_2addr_b64 v[160:163], v83 offset0:192 offset1:224
	s_wait_dscnt 0x0
	s_barrier_signal -1
	s_barrier_wait -1
	s_clause 0x3
	global_load_b128 v[164:167], v[4:5], off
	global_load_b128 v[168:171], v[8:9], off
	;; [unrolled: 1-line block ×4, first 2 shown]
	s_wait_xcnt 0x3
	v_mul_u32_u24_e32 v4, 0x10001, v195
	s_wait_xcnt 0x2
	v_pk_fma_f16 v8, v11, v182, v183
	v_pk_fma_f16 v9, v12, v198, v184
	;; [unrolled: 1-line block ×3, first 2 shown]
	v_and_b32_e32 v184, 0xffff, v6
	v_lshrrev_b32_e32 v6, 16, v6
	v_mul_u32_u24_e32 v5, 0x10001, v196
	v_and_b32_e32 v185, 0xffff, v7
	v_lshrrev_b32_e32 v7, 16, v7
	s_wait_xcnt 0x1
	v_pk_fma_f16 v92, v12, v4, v186
	v_pk_fma_f16 v93, v13, v198, v188
	v_pk_fma_f16 v12, v12, v5, v187
	s_wait_xcnt 0x0
	v_pk_fma_f16 v180, v13, v199, v189
	v_pk_fma_f16 v181, v13, v4, v190
	;; [unrolled: 1-line block ×9, first 2 shown]
	v_mul_u32_u24_e32 v184, 0x10001, v184
	v_mul_u32_u24_e32 v6, 0x10001, v6
	;; [unrolled: 1-line block ×4, first 2 shown]
	v_pk_fma_f16 v4, v15, v4, v197
	v_pk_fma_f16 v5, v15, v5, v8
	;; [unrolled: 1-line block ×15, first 2 shown]
	v_and_b32_e32 v18, 0xffff, v24
	v_lshrrev_b32_e32 v24, 16, v24
	v_and_b32_e32 v91, 0xffff, v25
	v_lshrrev_b32_e32 v25, 16, v25
	v_pk_fma_f16 v14, v19, v184, v14
	v_mul_u32_u24_e32 v18, 0x10001, v18
	v_mul_u32_u24_e32 v24, 0x10001, v24
	;; [unrolled: 1-line block ×4, first 2 shown]
	v_pk_fma_f16 v5, v19, v7, v5
	v_pk_fma_f16 v7, v20, v18, v8
	;; [unrolled: 1-line block ×11, first 2 shown]
	v_and_b32_e32 v18, 0xffff, v26
	v_lshrrev_b32_e32 v21, 16, v26
	v_pk_fma_f16 v4, v19, v185, v4
	v_pk_fma_f16 v19, v22, v24, v93
	;; [unrolled: 1-line block ×3, first 2 shown]
	v_mul_u32_u24_e32 v18, 0x10001, v18
	v_mul_u32_u24_e32 v21, 0x10001, v21
	v_pk_fma_f16 v20, v22, v91, v94
	v_pk_fma_f16 v10, v22, v25, v10
	v_and_b32_e32 v22, 0xffff, v27
	v_lshrrev_b32_e32 v24, 16, v27
	v_pk_fma_f16 v7, v104, v18, v7
	v_pk_fma_f16 v8, v104, v21, v8
	;; [unrolled: 1-line block ×8, first 2 shown]
	v_and_b32_e32 v18, 0xffff, v100
	v_lshrrev_b32_e32 v21, 16, v100
	v_pk_fma_f16 v4, v23, v91, v4
	v_mul_u32_u24_e32 v22, 0x10001, v22
	v_mul_u32_u24_e32 v24, 0x10001, v24
	v_pk_fma_f16 v5, v23, v25, v5
	v_and_b32_e32 v23, 0xffff, v101
	v_lshrrev_b32_e32 v25, 16, v101
	v_mul_u32_u24_e32 v18, 0x10001, v18
	v_mul_u32_u24_e32 v21, 0x10001, v21
	v_pk_fma_f16 v9, v104, v22, v9
	v_pk_fma_f16 v11, v104, v24, v11
	;; [unrolled: 1-line block ×7, first 2 shown]
	v_mul_u32_u24_e32 v22, 0x10001, v23
	v_pk_fma_f16 v5, v107, v24, v5
	v_pk_fma_f16 v7, v108, v18, v7
	;; [unrolled: 1-line block ×9, first 2 shown]
	v_and_b32_e32 v18, 0xffff, v102
	v_lshrrev_b32_e32 v21, 16, v102
	v_mul_u32_u24_e32 v23, 0x10001, v25
	v_and_b32_e32 v24, 0xffff, v103
	v_lshrrev_b32_e32 v25, 16, v103
	v_pk_fma_f16 v9, v108, v22, v9
	v_pk_fma_f16 v16, v109, v22, v16
	v_pk_fma_f16 v11, v108, v23, v11
	v_pk_fma_f16 v13, v109, v23, v13
	v_pk_fma_f16 v20, v110, v22, v20
	v_pk_fma_f16 v10, v110, v23, v10
	v_pk_fma_f16 v4, v111, v22, v4
	v_mul_u32_u24_e32 v18, 0x10001, v18
	v_mul_u32_u24_e32 v21, 0x10001, v21
	;; [unrolled: 1-line block ×3, first 2 shown]
	v_pk_fma_f16 v5, v111, v23, v5
	v_lshrrev_b32_e32 v23, 16, v128
	v_mul_u32_u24_e32 v24, 0x10001, v25
	v_pk_fma_f16 v7, v112, v18, v7
	v_pk_fma_f16 v8, v112, v21, v8
	;; [unrolled: 1-line block ×16, first 2 shown]
	v_and_b32_e32 v22, 0xffff, v128
	v_and_b32_e32 v24, 0xffff, v129
	v_lshrrev_b32_e32 v25, 16, v129
	v_pk_add_f32 v[4:5], v[58:59], v[62:63]
	v_mul_u32_u24_e32 v23, 0x10001, v23
	v_mul_u32_u24_e32 v22, 0x10001, v22
	;; [unrolled: 1-line block ×4, first 2 shown]
	v_pk_fma_f32 v[34:35], v[34:35], v[60:61], v[4:5]
	v_pk_fma_f16 v5, v116, v23, v8
	v_pk_fma_f16 v4, v116, v22, v7
	;; [unrolled: 1-line block ×10, first 2 shown]
	v_and_b32_e32 v19, 0xffff, v130
	v_lshrrev_b32_e32 v20, 16, v130
	v_pk_fma_f16 v14, v119, v22, v14
	v_pk_fma_f16 v6, v119, v23, v6
	v_lshrrev_b32_e32 v23, 16, v131
	v_mul_u32_u24_e32 v19, 0x10001, v19
	v_mul_u32_u24_e32 v20, 0x10001, v20
	v_pk_fma_f16 v13, v117, v25, v13
	v_pk_fma_f16 v10, v118, v25, v10
	v_and_b32_e32 v22, 0xffff, v131
	v_pk_fma_f16 v4, v120, v19, v4
	v_pk_fma_f16 v5, v120, v20, v5
	;; [unrolled: 1-line block ×8, first 2 shown]
	v_and_b32_e32 v19, 0xffff, v132
	v_lshrrev_b32_e32 v20, 16, v132
	v_pk_fma_f16 v21, v119, v25, v21
	v_lshrrev_b32_e32 v25, 16, v133
	v_pk_fma_f16 v18, v119, v24, v18
	v_mul_u32_u24_e32 v19, 0x10001, v19
	v_mul_u32_u24_e32 v20, 0x10001, v20
	;; [unrolled: 1-line block ×3, first 2 shown]
	v_and_b32_e32 v24, 0xffff, v133
	v_mul_u32_u24_e32 v23, 0x10001, v23
	v_pk_fma_f16 v4, v124, v19, v4
	v_pk_fma_f16 v5, v124, v20, v5
	;; [unrolled: 1-line block ×8, first 2 shown]
	v_and_b32_e32 v19, 0xffff, v134
	v_lshrrev_b32_e32 v20, 16, v134
	v_pk_fma_f16 v7, v120, v22, v7
	v_pk_fma_f16 v12, v121, v22, v12
	;; [unrolled: 1-line block ×3, first 2 shown]
	v_mul_u32_u24_e32 v19, 0x10001, v19
	v_mul_u32_u24_e32 v20, 0x10001, v20
	v_pk_fma_f16 v18, v123, v22, v18
	v_mul_u32_u24_e32 v22, 0x10001, v24
	v_mul_u32_u24_e32 v24, 0x10001, v25
	v_lshrrev_b32_e32 v25, 16, v135
	v_pk_fma_f16 v4, v136, v19, v4
	v_pk_fma_f16 v5, v136, v20, v5
	;; [unrolled: 1-line block ×8, first 2 shown]
	v_and_b32_e32 v19, 0xffff, v152
	v_lshrrev_b32_e32 v20, 16, v152
	v_pk_fma_f16 v8, v120, v23, v8
	v_pk_fma_f16 v13, v121, v23, v13
	;; [unrolled: 1-line block ×4, first 2 shown]
	v_and_b32_e32 v23, 0xffff, v135
	v_mul_u32_u24_e32 v19, 0x10001, v19
	v_mul_u32_u24_e32 v20, 0x10001, v20
	v_pk_fma_f16 v7, v124, v22, v7
	v_pk_fma_f16 v12, v125, v22, v12
	;; [unrolled: 1-line block ×4, first 2 shown]
	v_mul_u32_u24_e32 v22, 0x10001, v23
	v_mul_u32_u24_e32 v23, 0x10001, v25
	v_lshrrev_b32_e32 v25, 16, v153
	v_pk_fma_f16 v4, v140, v19, v4
	v_pk_fma_f16 v5, v140, v20, v5
	;; [unrolled: 1-line block ×8, first 2 shown]
	v_and_b32_e32 v19, 0xffff, v154
	v_lshrrev_b32_e32 v20, 16, v154
	v_pk_fma_f16 v8, v124, v24, v8
	v_pk_fma_f16 v13, v125, v24, v13
	;; [unrolled: 1-line block ×4, first 2 shown]
	v_and_b32_e32 v24, 0xffff, v153
	v_mul_u32_u24_e32 v19, 0x10001, v19
	v_mul_u32_u24_e32 v20, 0x10001, v20
	v_pk_fma_f16 v7, v136, v22, v7
	v_pk_fma_f16 v8, v136, v23, v8
	;; [unrolled: 1-line block ×7, first 2 shown]
	v_mul_u32_u24_e32 v22, 0x10001, v24
	v_mul_u32_u24_e32 v24, 0x10001, v25
	v_pk_fma_f16 v21, v139, v23, v21
	v_and_b32_e32 v23, 0xffff, v155
	v_lshrrev_b32_e32 v25, 16, v155
	v_pk_fma_f16 v4, v144, v19, v4
	v_pk_fma_f16 v5, v144, v20, v5
	v_pk_fma_f16 v9, v145, v19, v9
	v_pk_fma_f16 v11, v145, v20, v11
	v_pk_fma_f16 v15, v146, v19, v15
	v_pk_fma_f16 v16, v146, v20, v16
	v_pk_fma_f16 v14, v147, v19, v14
	v_pk_fma_f16 v6, v147, v20, v6
	v_and_b32_e32 v19, 0xffff, v156
	v_lshrrev_b32_e32 v20, 16, v156
	v_pk_fma_f16 v7, v140, v22, v7
	v_pk_fma_f16 v8, v140, v24, v8
	;; [unrolled: 1-line block ×7, first 2 shown]
	v_mul_u32_u24_e32 v22, 0x10001, v23
	v_mul_u32_u24_e32 v23, 0x10001, v25
	v_pk_fma_f16 v21, v143, v24, v21
	v_and_b32_e32 v24, 0xffff, v157
	v_lshrrev_b32_e32 v25, 16, v157
	v_mul_u32_u24_e32 v19, 0x10001, v19
	v_mul_u32_u24_e32 v20, 0x10001, v20
	v_pk_fma_f16 v7, v144, v22, v7
	v_pk_fma_f16 v8, v144, v23, v8
	;; [unrolled: 1-line block ×7, first 2 shown]
	v_mul_u32_u24_e32 v22, 0x10001, v24
	v_mul_u32_u24_e32 v24, 0x10001, v25
	v_pk_fma_f16 v21, v147, v23, v21
	v_pk_fma_f16 v23, v148, v19, v4
	;; [unrolled: 1-line block ×7, first 2 shown]
	v_and_b32_e32 v4, 0xffff, v158
	v_lshrrev_b32_e32 v5, 16, v158
	v_and_b32_e32 v6, 0xffff, v159
	v_pk_fma_f16 v26, v148, v22, v7
	v_pk_fma_f16 v11, v149, v20, v11
	;; [unrolled: 1-line block ×7, first 2 shown]
	v_mul_u32_u24_e32 v20, 0x10001, v4
	v_mul_u32_u24_e32 v22, 0x10001, v5
	;; [unrolled: 1-line block ×3, first 2 shown]
	s_wait_loadcnt 0x3
	ds_store_b128 v79, v[164:167]
	s_wait_loadcnt 0x2
	ds_store_b128 v80, v[168:171]
	;; [unrolled: 2-line block ×4, first 2 shown]
	s_wait_dscnt 0x0
	s_barrier_signal -1
	s_barrier_wait -1
	ds_load_b128 v[4:7], v78 offset:512
	v_lshrrev_b32_e32 v10, 16, v159
	v_pk_fma_f16 v8, v148, v24, v8
	v_pk_fma_f16 v61, v161, v20, v9
	;; [unrolled: 1-line block ×4, first 2 shown]
	v_mul_u32_u24_e32 v59, 0x10001, v10
	v_pk_fma_f16 v63, v161, v58, v12
	v_pk_fma_f16 v65, v162, v20, v15
	;; [unrolled: 1-line block ×5, first 2 shown]
	ds_load_2addr_b64 v[8:11], v90 offset1:32
	v_pk_fma_f16 v64, v161, v59, v13
	v_pk_fma_f16 v94, v163, v20, v14
	ds_load_b128 v[12:15], v78 offset:528
	v_pk_fma_f16 v21, v151, v24, v21
	v_pk_fma_f16 v24, v160, v20, v23
	;; [unrolled: 1-line block ×4, first 2 shown]
	s_wait_dscnt 0x2
	v_and_b32_e32 v16, 0xffff, v4
	v_lshrrev_b32_e32 v4, 16, v4
	v_and_b32_e32 v17, 0xffff, v5
	v_lshrrev_b32_e32 v5, 16, v5
	v_pk_fma_f16 v93, v162, v59, v27
	v_mul_u32_u24_e32 v101, 0x10001, v16
	v_mul_u32_u24_e32 v4, 0x10001, v4
	;; [unrolled: 1-line block ×3, first 2 shown]
	v_pk_fma_f16 v100, v163, v22, v19
	v_pk_fma_f16 v58, v163, v58, v18
	;; [unrolled: 1-line block ×3, first 2 shown]
	v_mul_u32_u24_e32 v5, 0x10001, v5
	ds_load_b128 v[16:19], v78 offset:544
	ds_load_b128 v[20:23], v78 offset:560
	s_wait_dscnt 0x3
	v_pk_fma_f16 v103, v8, v101, v24
	v_pk_fma_f16 v104, v8, v4, v25
	;; [unrolled: 1-line block ×3, first 2 shown]
	ds_load_2addr_b64 v[24:27], v90 offset0:64 offset1:96
	v_pk_fma_f16 v8, v8, v5, v60
	v_pk_fma_f16 v60, v9, v101, v61
	v_pk_fma_f16 v61, v9, v4, v62
	v_pk_fma_f16 v62, v9, v102, v63
	v_pk_fma_f16 v9, v9, v5, v64
	v_pk_fma_f16 v63, v10, v101, v65
	v_pk_fma_f16 v64, v10, v4, v91
	v_pk_fma_f16 v65, v10, v102, v92
	v_pk_fma_f16 v10, v10, v5, v93
	v_pk_fma_f16 v92, v11, v4, v100
	v_and_b32_e32 v4, 0xffff, v6
	v_lshrrev_b32_e32 v6, 16, v6
	v_and_b32_e32 v93, 0xffff, v7
	v_lshrrev_b32_e32 v7, 16, v7
	v_pk_fma_f16 v91, v11, v101, v94
	v_pk_fma_f16 v58, v11, v102, v58
	v_mul_u32_u24_e32 v94, 0x10001, v4
	v_mul_u32_u24_e32 v100, 0x10001, v6
	;; [unrolled: 1-line block ×3, first 2 shown]
	v_pk_fma_f16 v11, v11, v5, v59
	ds_load_2addr_b64 v[4:7], v90 offset0:128 offset1:160
	v_mul_u32_u24_e32 v93, 0x10001, v93
	s_wait_dscnt 0x1
	v_pk_fma_f16 v59, v24, v94, v103
	v_pk_fma_f16 v102, v24, v100, v104
	;; [unrolled: 1-line block ×3, first 2 shown]
	s_or_b32 s24, s4, 0x60
	v_pk_fma_f16 v103, v24, v93, v105
	v_pk_fma_f16 v24, v25, v94, v60
	;; [unrolled: 1-line block ×9, first 2 shown]
	v_and_b32_e32 v9, 0xffff, v12
	v_lshrrev_b32_e32 v10, 16, v12
	v_and_b32_e32 v12, 0xffff, v13
	v_lshrrev_b32_e32 v13, 16, v13
	v_pk_fma_f16 v65, v27, v94, v91
	v_pk_fma_f16 v91, v27, v100, v92
	;; [unrolled: 1-line block ×3, first 2 shown]
	v_mul_u32_u24_e32 v92, 0x10001, v9
	v_mul_u32_u24_e32 v93, 0x10001, v10
	;; [unrolled: 1-line block ×4, first 2 shown]
	v_pk_fma_f16 v27, v27, v101, v11
	s_wait_dscnt 0x0
	v_pk_fma_f16 v59, v4, v92, v59
	v_pk_fma_f16 v94, v4, v93, v102
	;; [unrolled: 1-line block ×4, first 2 shown]
	ds_load_2addr_b64 v[8:11], v90 offset0:192 offset1:224
	v_pk_fma_f16 v24, v5, v92, v24
	v_pk_fma_f16 v60, v5, v93, v60
	v_pk_fma_f16 v61, v5, v12, v61
	v_pk_fma_f16 v25, v5, v13, v25
	v_pk_fma_f16 v62, v6, v92, v62
	v_pk_fma_f16 v63, v6, v93, v63
	v_pk_fma_f16 v64, v6, v12, v64
	v_pk_fma_f16 v26, v6, v13, v26
	v_and_b32_e32 v5, 0xffff, v14
	v_lshrrev_b32_e32 v6, 16, v14
	v_and_b32_e32 v14, 0xffff, v15
	v_lshrrev_b32_e32 v15, 16, v15
	v_pk_fma_f16 v65, v7, v92, v65
	v_pk_fma_f16 v12, v7, v12, v58
	v_mul_u32_u24_e32 v58, 0x10001, v5
	v_mul_u32_u24_e32 v92, 0x10001, v6
	;; [unrolled: 1-line block ×4, first 2 shown]
	v_pk_fma_f16 v91, v7, v93, v91
	v_pk_fma_f16 v13, v7, v13, v27
	s_wait_dscnt 0x0
	v_pk_fma_f16 v27, v8, v58, v59
	v_pk_fma_f16 v59, v8, v92, v94
	;; [unrolled: 1-line block ×4, first 2 shown]
	ds_load_2addr_b64 v[4:7], v88 offset1:32
	v_pk_fma_f16 v24, v9, v58, v24
	v_pk_fma_f16 v60, v9, v92, v60
	v_pk_fma_f16 v61, v9, v14, v61
	v_pk_fma_f16 v25, v9, v15, v25
	v_pk_fma_f16 v62, v10, v58, v62
	v_pk_fma_f16 v63, v10, v92, v63
	v_pk_fma_f16 v64, v10, v14, v64
	v_pk_fma_f16 v26, v10, v15, v26
	v_and_b32_e32 v9, 0xffff, v16
	v_lshrrev_b32_e32 v10, 16, v16
	v_and_b32_e32 v16, 0xffff, v17
	v_lshrrev_b32_e32 v17, 16, v17
	v_pk_fma_f16 v58, v11, v58, v65
	v_pk_fma_f16 v65, v11, v92, v91
	v_pk_fma_f16 v12, v11, v14, v12
	v_mul_u32_u24_e32 v14, 0x10001, v9
	v_mul_u32_u24_e32 v91, 0x10001, v10
	v_mul_u32_u24_e32 v16, 0x10001, v16
	v_mul_u32_u24_e32 v17, 0x10001, v17
	v_pk_fma_f16 v13, v11, v15, v13
	s_wait_dscnt 0x0
	v_pk_fma_f16 v15, v4, v14, v27
	v_pk_fma_f16 v27, v4, v91, v59
	v_pk_fma_f16 v59, v4, v16, v93
	v_pk_fma_f16 v4, v4, v17, v8
	ds_load_2addr_b64 v[8:11], v88 offset0:64 offset1:96
	v_pk_fma_f16 v24, v5, v14, v24
	v_pk_fma_f16 v60, v5, v91, v60
	v_pk_fma_f16 v61, v5, v16, v61
	v_pk_fma_f16 v25, v5, v17, v25
	v_pk_fma_f16 v62, v6, v14, v62
	v_pk_fma_f16 v63, v6, v91, v63
	v_pk_fma_f16 v64, v6, v16, v64
	v_pk_fma_f16 v26, v6, v17, v26
	v_and_b32_e32 v5, 0xffff, v18
	v_lshrrev_b32_e32 v6, 16, v18
	v_and_b32_e32 v18, 0xffff, v19
	v_lshrrev_b32_e32 v19, 16, v19
	v_pk_fma_f16 v14, v7, v14, v58
	v_pk_fma_f16 v58, v7, v91, v65
	v_pk_fma_f16 v12, v7, v16, v12
	v_mul_u32_u24_e32 v16, 0x10001, v5
	v_mul_u32_u24_e32 v65, 0x10001, v6
	v_mul_u32_u24_e32 v18, 0x10001, v18
	v_mul_u32_u24_e32 v19, 0x10001, v19
	v_pk_fma_f16 v13, v7, v17, v13
	s_wait_dscnt 0x0
	v_pk_fma_f16 v15, v8, v16, v15
	v_pk_fma_f16 v17, v8, v65, v27
	v_pk_fma_f16 v27, v8, v18, v59
	v_pk_fma_f16 v8, v8, v19, v4
	ds_load_2addr_b64 v[4:7], v88 offset0:128 offset1:160
	;; [unrolled: 26-line block ×3, first 2 shown]
	v_pk_fma_f16 v24, v5, v18, v24
	v_pk_fma_f16 v59, v5, v58, v59
	;; [unrolled: 1-line block ×8, first 2 shown]
	v_and_b32_e32 v5, 0xffff, v22
	v_lshrrev_b32_e32 v6, 16, v22
	v_pk_fma_f16 v18, v7, v18, v14
	v_pk_fma_f16 v16, v7, v58, v16
	;; [unrolled: 1-line block ×3, first 2 shown]
	v_mul_u32_u24_e32 v58, 0x10001, v5
	v_mul_u32_u24_e32 v65, 0x10001, v6
	v_and_b32_e32 v22, 0xffff, v23
	ds_load_b128 v[12:15], v78 offset:576
	v_pk_fma_f16 v21, v7, v21, v19
	s_ashr_i32 s25, s24, 31
	s_wait_dscnt 0x1
	v_pk_fma_f16 v64, v8, v58, v64
	v_pk_fma_f16 v91, v8, v65, v17
	;; [unrolled: 1-line block ×8, first 2 shown]
	ds_load_b128 v[16:19], v78 offset:592
	v_lshrrev_b32_e32 v23, 16, v23
	v_mul_u32_u24_e32 v22, 0x10001, v22
	s_mul_u64 s[24:25], s[24:25], s[10:11]
	s_delay_alu instid0(SALU_CYCLE_1) | instskip(NEXT) | instid1(VALU_DEP_2)
	s_lshl_b64 s[24:25], s[24:25], 2
	v_mul_u32_u24_e32 v23, 0x10001, v23
	s_delay_alu instid0(VALU_DEP_2)
	v_pk_fma_f16 v27, v8, v22, v27
	v_pk_fma_f16 v60, v9, v22, v60
	;; [unrolled: 1-line block ×5, first 2 shown]
	ds_load_2addr_b64 v[4:7], v84 offset1:32
	v_pk_fma_f16 v25, v9, v23, v25
	v_pk_fma_f16 v26, v10, v23, v26
	s_wait_dscnt 0x2
	v_and_b32_e32 v9, 0xffff, v12
	v_lshrrev_b32_e32 v10, 16, v12
	v_and_b32_e32 v12, 0xffff, v13
	v_lshrrev_b32_e32 v13, 16, v13
	v_pk_fma_f16 v21, v11, v23, v21
	v_mul_u32_u24_e32 v22, 0x10001, v9
	v_mul_u32_u24_e32 v92, 0x10001, v10
	;; [unrolled: 1-line block ×4, first 2 shown]
	s_add_nc_u64 s[24:25], s[8:9], s[24:25]
	s_delay_alu instid0(SALU_CYCLE_1)
	v_add_nc_u64_e32 v[156:157], s[24:25], v[56:57]
	s_wait_dscnt 0x0
	v_pk_fma_f16 v23, v4, v22, v64
	v_pk_fma_f16 v64, v4, v92, v91
	v_pk_fma_f16 v27, v4, v12, v27
	v_pk_fma_f16 v4, v4, v13, v8
	ds_load_2addr_b64 v[8:11], v84 offset0:64 offset1:96
	v_pk_fma_f16 v24, v5, v22, v24
	v_pk_fma_f16 v59, v5, v92, v59
	;; [unrolled: 1-line block ×8, first 2 shown]
	v_and_b32_e32 v5, 0xffff, v14
	v_lshrrev_b32_e32 v6, 16, v14
	v_and_b32_e32 v14, 0xffff, v15
	v_lshrrev_b32_e32 v15, 16, v15
	v_pk_fma_f16 v22, v7, v22, v58
	v_pk_fma_f16 v58, v7, v92, v65
	;; [unrolled: 1-line block ×3, first 2 shown]
	v_mul_u32_u24_e32 v20, 0x10001, v5
	v_mul_u32_u24_e32 v65, 0x10001, v6
	;; [unrolled: 1-line block ×4, first 2 shown]
	v_pk_fma_f16 v13, v7, v13, v21
	s_wait_dscnt 0x0
	v_pk_fma_f16 v21, v8, v20, v23
	v_pk_fma_f16 v23, v8, v65, v64
	;; [unrolled: 1-line block ×4, first 2 shown]
	ds_load_2addr_b64 v[4:7], v84 offset0:128 offset1:160
	v_pk_fma_f16 v24, v9, v20, v24
	v_pk_fma_f16 v59, v9, v65, v59
	v_pk_fma_f16 v60, v9, v14, v60
	v_pk_fma_f16 v25, v9, v15, v25
	v_pk_fma_f16 v61, v10, v20, v61
	v_pk_fma_f16 v62, v10, v65, v62
	v_pk_fma_f16 v63, v10, v14, v63
	v_pk_fma_f16 v26, v10, v15, v26
	v_and_b32_e32 v9, 0xffff, v16
	v_lshrrev_b32_e32 v10, 16, v16
	v_and_b32_e32 v16, 0xffff, v17
	v_lshrrev_b32_e32 v17, 16, v17
	v_pk_fma_f16 v20, v11, v20, v22
	v_pk_fma_f16 v22, v11, v65, v58
	;; [unrolled: 1-line block ×3, first 2 shown]
	v_mul_u32_u24_e32 v14, 0x10001, v9
	v_mul_u32_u24_e32 v58, 0x10001, v10
	;; [unrolled: 1-line block ×4, first 2 shown]
	v_pk_fma_f16 v64, v11, v15, v13
	s_wait_dscnt 0x0
	v_pk_fma_f16 v21, v4, v14, v21
	v_pk_fma_f16 v23, v4, v58, v23
	;; [unrolled: 1-line block ×4, first 2 shown]
	ds_load_2addr_b64 v[8:11], v84 offset0:192 offset1:224
	v_pk_fma_f16 v24, v5, v14, v24
	v_pk_fma_f16 v59, v5, v58, v59
	;; [unrolled: 1-line block ×10, first 2 shown]
	v_and_b32_e32 v5, 0xffff, v18
	v_lshrrev_b32_e32 v6, 16, v18
	v_pk_fma_f16 v58, v7, v16, v12
	v_and_b32_e32 v16, 0xffff, v19
	ds_load_b128 v[12:15], v78 offset:608
	v_lshrrev_b32_e32 v18, 16, v19
	v_mul_u32_u24_e32 v19, 0x10001, v5
	v_mul_u32_u24_e32 v65, 0x10001, v6
	;; [unrolled: 1-line block ×3, first 2 shown]
	v_pk_fma_f16 v64, v7, v17, v64
	v_mul_u32_u24_e32 v92, 0x10001, v18
	s_wait_dscnt 0x1
	v_pk_fma_f16 v21, v8, v19, v21
	v_pk_fma_f16 v23, v8, v65, v23
	v_pk_fma_f16 v27, v8, v91, v27
	v_pk_fma_f16 v24, v9, v19, v24
	v_pk_fma_f16 v8, v8, v92, v4
	ds_load_2addr_b64 v[4:7], v85 offset1:32
	v_pk_fma_f16 v59, v9, v65, v59
	v_pk_fma_f16 v60, v9, v91, v60
	;; [unrolled: 1-line block ×8, first 2 shown]
	ds_load_b128 v[16:19], v78 offset:624
	s_wait_dscnt 0x2
	v_and_b32_e32 v9, 0xffff, v12
	v_lshrrev_b32_e32 v10, 16, v12
	v_and_b32_e32 v12, 0xffff, v13
	v_lshrrev_b32_e32 v13, 16, v13
	v_pk_fma_f16 v22, v11, v65, v22
	v_pk_fma_f16 v58, v11, v91, v58
	v_mul_u32_u24_e32 v65, 0x10001, v9
	v_mul_u32_u24_e32 v91, 0x10001, v10
	;; [unrolled: 1-line block ×4, first 2 shown]
	v_pk_fma_f16 v64, v11, v92, v64
	s_wait_dscnt 0x1
	v_pk_fma_f16 v21, v4, v65, v21
	v_pk_fma_f16 v23, v4, v91, v23
	;; [unrolled: 1-line block ×4, first 2 shown]
	ds_load_2addr_b64 v[8:11], v85 offset0:64 offset1:96
	v_pk_fma_f16 v24, v5, v65, v24
	v_pk_fma_f16 v59, v5, v91, v59
	;; [unrolled: 1-line block ×8, first 2 shown]
	v_and_b32_e32 v5, 0xffff, v14
	v_lshrrev_b32_e32 v6, 16, v14
	v_and_b32_e32 v14, 0xffff, v15
	v_lshrrev_b32_e32 v15, 16, v15
	v_pk_fma_f16 v20, v7, v65, v20
	v_pk_fma_f16 v12, v7, v12, v58
	v_mul_u32_u24_e32 v58, 0x10001, v5
	v_mul_u32_u24_e32 v65, 0x10001, v6
	;; [unrolled: 1-line block ×4, first 2 shown]
	v_pk_fma_f16 v22, v7, v91, v22
	v_pk_fma_f16 v13, v7, v13, v64
	s_wait_dscnt 0x0
	v_pk_fma_f16 v21, v8, v58, v21
	v_pk_fma_f16 v23, v8, v65, v23
	;; [unrolled: 1-line block ×4, first 2 shown]
	ds_load_2addr_b64 v[4:7], v85 offset0:128 offset1:160
	v_pk_fma_f16 v24, v9, v58, v24
	v_pk_fma_f16 v59, v9, v65, v59
	;; [unrolled: 1-line block ×8, first 2 shown]
	v_and_b32_e32 v9, 0xffff, v16
	v_lshrrev_b32_e32 v10, 16, v16
	v_and_b32_e32 v16, 0xffff, v17
	v_lshrrev_b32_e32 v17, 16, v17
	v_pk_fma_f16 v20, v11, v58, v20
	v_pk_fma_f16 v12, v11, v14, v12
	v_mul_u32_u24_e32 v14, 0x10001, v9
	v_mul_u32_u24_e32 v58, 0x10001, v10
	;; [unrolled: 1-line block ×4, first 2 shown]
	v_pk_fma_f16 v22, v11, v65, v22
	v_pk_fma_f16 v64, v11, v15, v13
	s_wait_dscnt 0x0
	v_pk_fma_f16 v21, v4, v14, v21
	v_pk_fma_f16 v24, v5, v14, v24
	;; [unrolled: 1-line block ×7, first 2 shown]
	v_and_b32_e32 v13, 0xffff, v18
	v_lshrrev_b32_e32 v14, 16, v18
	v_pk_fma_f16 v23, v4, v58, v23
	v_pk_fma_f16 v27, v4, v16, v27
	;; [unrolled: 1-line block ×3, first 2 shown]
	ds_load_2addr_b64 v[8:11], v85 offset0:192 offset1:224
	v_pk_fma_f16 v61, v6, v58, v62
	v_pk_fma_f16 v62, v6, v16, v63
	;; [unrolled: 1-line block ×5, first 2 shown]
	v_mul_u32_u24_e32 v58, 0x10001, v13
	v_mul_u32_u24_e32 v63, 0x10001, v14
	ds_load_b128 v[12:15], v78 offset:640
	v_and_b32_e32 v16, 0xffff, v19
	v_lshrrev_b32_e32 v18, 16, v19
	v_pk_fma_f16 v64, v7, v17, v64
	v_add_nc_u64_e32 v[172:173], v[156:157], v[42:43]
	s_delay_alu instid0(VALU_DEP_4) | instskip(NEXT) | instid1(VALU_DEP_4)
	v_mul_u32_u24_e32 v65, 0x10001, v16
	v_mul_u32_u24_e32 v91, 0x10001, v18
	ds_load_2addr_b64 v[16:19], v86 offset1:32
	s_wait_dscnt 0x2
	v_pk_fma_f16 v21, v8, v58, v21
	v_pk_fma_f16 v23, v8, v63, v23
	;; [unrolled: 1-line block ×9, first 2 shown]
	ds_load_b128 v[4:7], v78 offset:656
	s_wait_dscnt 0x2
	v_and_b32_e32 v9, 0xffff, v12
	v_pk_fma_f16 v25, v10, v58, v25
	v_pk_fma_f16 v61, v10, v63, v61
	;; [unrolled: 1-line block ×4, first 2 shown]
	v_lshrrev_b32_e32 v10, 16, v12
	v_and_b32_e32 v12, 0xffff, v13
	v_lshrrev_b32_e32 v13, 16, v13
	v_mul_u32_u24_e32 v58, 0x10001, v9
	v_pk_fma_f16 v22, v11, v63, v22
	v_mul_u32_u24_e32 v63, 0x10001, v10
	v_mul_u32_u24_e32 v12, 0x10001, v12
	v_pk_fma_f16 v26, v11, v65, v26
	s_wait_dscnt 0x1
	v_pk_fma_f16 v21, v16, v58, v21
	v_pk_fma_f16 v24, v17, v58, v24
	;; [unrolled: 1-line block ×4, first 2 shown]
	v_and_b32_e32 v58, 0xffff, v14
	v_lshrrev_b32_e32 v14, 16, v14
	v_mul_u32_u24_e32 v13, 0x10001, v13
	v_pk_fma_f16 v64, v11, v91, v64
	v_pk_fma_f16 v23, v16, v63, v23
	;; [unrolled: 1-line block ×5, first 2 shown]
	ds_load_2addr_b64 v[8:11], v86 offset0:64 offset1:96
	v_pk_fma_f16 v61, v18, v63, v61
	v_pk_fma_f16 v22, v19, v63, v22
	v_and_b32_e32 v63, 0xffff, v15
	s_wait_dscnt 0x1
	v_dual_lshrrev_b32 v15, 16, v15 :: v_dual_lshrrev_b32 v188, 16, v4
	v_pk_fma_f16 v60, v17, v12, v60
	v_pk_fma_f16 v17, v17, v13, v92
	v_mul_u32_u24_e32 v58, 0x10001, v58
	v_mul_u32_u24_e32 v65, 0x10001, v14
	;; [unrolled: 1-line block ×4, first 2 shown]
	v_and_b32_e32 v187, 0xffff, v4
	v_and_b32_e32 v189, 0xffff, v5
	v_lshrrev_b32_e32 v190, 16, v5
	v_add_nc_u64_e32 v[4:5], s[24:25], v[50:51]
	v_pk_fma_f16 v62, v18, v12, v62
	v_pk_fma_f16 v18, v18, v13, v93
	v_add_nc_u64_e32 v[92:93], s[24:25], v[54:55]
	v_pk_fma_f16 v26, v19, v12, v26
	s_wait_dscnt 0x0
	v_pk_fma_f16 v174, v8, v58, v21
	v_pk_fma_f16 v175, v8, v65, v23
	;; [unrolled: 1-line block ×8, first 2 shown]
	v_add_nc_u64_e32 v[8:9], s[24:25], v[52:53]
	v_add_nc_u64_e32 v[4:5], v[4:5], v[42:43]
	;; [unrolled: 1-line block ×3, first 2 shown]
	v_pk_fma_f16 v94, v19, v13, v64
	ds_load_2addr_b64 v[12:15], v86 offset0:128 offset1:160
	v_pk_fma_f16 v182, v10, v58, v25
	v_pk_fma_f16 v183, v10, v65, v61
	v_add_nc_u64_e32 v[8:9], v[8:9], v[42:43]
	v_pk_fma_f16 v184, v10, v63, v62
	v_pk_fma_f16 v10, v10, v91, v18
	;; [unrolled: 1-line block ×5, first 2 shown]
	ds_load_2addr_b64 v[16:19], v86 offset0:192 offset1:224
	ds_load_2addr_b64 v[20:23], v87 offset1:32
	ds_load_b128 v[24:27], v78 offset:672
	ds_load_b128 v[58:61], v78 offset:688
	ds_load_2addr_b64 v[62:65], v87 offset0:64 offset1:96
	ds_load_2addr_b64 v[100:103], v87 offset0:128 offset1:160
	;; [unrolled: 1-line block ×3, first 2 shown]
	ds_load_2addr_b64 v[108:111], v89 offset1:32
	ds_load_2addr_b64 v[112:115], v89 offset0:64 offset1:96
	ds_load_2addr_b64 v[116:119], v89 offset0:128 offset1:160
	ds_load_b128 v[120:123], v78 offset:704
	ds_load_b128 v[124:127], v78 offset:720
	ds_load_2addr_b64 v[128:131], v89 offset0:192 offset1:224
	ds_load_2addr_b64 v[132:135], v83 offset1:32
	ds_load_2addr_b64 v[136:139], v83 offset0:64 offset1:96
	ds_load_2addr_b64 v[140:143], v83 offset0:128 offset1:160
	ds_load_b128 v[144:147], v78 offset:736
	ds_load_b128 v[148:151], v78 offset:752
	ds_load_2addr_b64 v[152:155], v83 offset0:192 offset1:224
	s_wait_dscnt 0x0
	s_barrier_signal -1
	s_barrier_wait -1
	s_clause 0x3
	global_load_b128 v[156:159], v[4:5], off
	global_load_b128 v[160:163], v[8:9], off
	;; [unrolled: 1-line block ×4, first 2 shown]
	s_wait_xcnt 0x3
	v_mul_u32_u24_e32 v4, 0x10001, v187
	v_mul_u32_u24_e32 v5, 0x10001, v188
	s_wait_xcnt 0x2
	v_mul_u32_u24_e32 v8, 0x10001, v189
	v_mul_u32_u24_e32 v9, 0x10001, v190
	v_pk_fma_f16 v11, v11, v91, v94
	v_pk_fma_f16 v91, v12, v4, v174
	s_wait_xcnt 0x1
	v_pk_fma_f16 v92, v12, v5, v175
	v_pk_fma_f16 v93, v12, v8, v176
	;; [unrolled: 1-line block ×7, first 2 shown]
	v_and_b32_e32 v14, 0xffff, v6
	v_lshrrev_b32_e32 v6, 16, v6
	v_and_b32_e32 v177, 0xffff, v7
	v_lshrrev_b32_e32 v7, 16, v7
	v_pk_fma_f16 v94, v13, v4, v178
	s_wait_xcnt 0x0
	v_pk_fma_f16 v172, v13, v5, v179
	v_pk_fma_f16 v173, v13, v8, v180
	;; [unrolled: 1-line block ×5, first 2 shown]
	v_mul_u32_u24_e32 v14, 0x10001, v14
	v_mul_u32_u24_e32 v6, 0x10001, v6
	;; [unrolled: 1-line block ×4, first 2 shown]
	v_pk_fma_f16 v8, v15, v8, v191
	v_pk_fma_f16 v9, v15, v9, v11
	;; [unrolled: 1-line block ×16, first 2 shown]
	v_and_b32_e32 v6, 0xffff, v24
	v_lshrrev_b32_e32 v14, 16, v24
	v_and_b32_e32 v18, 0xffff, v25
	v_lshrrev_b32_e32 v24, 16, v25
	v_pk_fma_f16 v8, v19, v177, v8
	v_mul_u32_u24_e32 v6, 0x10001, v6
	v_mul_u32_u24_e32 v14, 0x10001, v14
	;; [unrolled: 1-line block ×4, first 2 shown]
	v_pk_fma_f16 v7, v19, v7, v9
	v_pk_fma_f16 v9, v20, v6, v11
	;; [unrolled: 1-line block ×14, first 2 shown]
	v_and_b32_e32 v6, 0xffff, v26
	v_lshrrev_b32_e32 v22, 16, v26
	v_and_b32_e32 v26, 0xffff, v27
	v_pk_fma_f16 v5, v23, v14, v5
	v_lshrrev_b32_e32 v14, 16, v27
	v_mul_u32_u24_e32 v6, 0x10001, v6
	v_mul_u32_u24_e32 v22, 0x10001, v22
	;; [unrolled: 1-line block ×3, first 2 shown]
	v_pk_fma_f16 v8, v23, v18, v8
	v_pk_fma_f16 v7, v23, v24, v7
	;; [unrolled: 1-line block ×8, first 2 shown]
	v_lshrrev_b32_e32 v22, 16, v58
	v_mul_u32_u24_e32 v14, 0x10001, v14
	v_pk_fma_f16 v16, v63, v6, v16
	v_pk_fma_f16 v17, v64, v6, v17
	;; [unrolled: 1-line block ×6, first 2 shown]
	v_and_b32_e32 v13, 0xffff, v58
	v_and_b32_e32 v23, 0xffff, v59
	v_pk_fma_f16 v15, v62, v26, v15
	v_pk_fma_f16 v21, v64, v26, v25
	v_mul_u32_u24_e32 v22, 0x10001, v22
	v_mul_u32_u24_e32 v13, 0x10001, v13
	;; [unrolled: 1-line block ×3, first 2 shown]
	v_lshrrev_b32_e32 v24, 16, v59
	v_pk_fma_f16 v10, v64, v14, v10
	v_pk_fma_f16 v7, v65, v14, v7
	;; [unrolled: 1-line block ×11, first 2 shown]
	v_and_b32_e32 v13, 0xffff, v60
	v_lshrrev_b32_e32 v21, 16, v60
	v_pk_fma_f16 v11, v100, v22, v11
	v_pk_fma_f16 v5, v103, v22, v5
	;; [unrolled: 1-line block ×3, first 2 shown]
	v_mul_u32_u24_e32 v13, 0x10001, v13
	v_mul_u32_u24_e32 v21, 0x10001, v21
	v_lshrrev_b32_e32 v23, 16, v61
	v_mul_u32_u24_e32 v24, 0x10001, v24
	v_and_b32_e32 v22, 0xffff, v61
	v_pk_fma_f16 v9, v104, v13, v9
	v_pk_fma_f16 v11, v104, v21, v11
	;; [unrolled: 1-line block ×8, first 2 shown]
	v_and_b32_e32 v13, 0xffff, v120
	v_dual_lshrrev_b32 v21, 16, v120 :: v_dual_lshrrev_b32 v25, 16, v121
	v_pk_fma_f16 v8, v100, v24, v8
	v_pk_fma_f16 v12, v101, v24, v12
	s_delay_alu instid0(VALU_DEP_4) | instskip(NEXT) | instid1(VALU_DEP_4)
	v_mul_u32_u24_e32 v13, 0x10001, v13
	v_mul_u32_u24_e32 v21, 0x10001, v21
	v_pk_fma_f16 v10, v102, v24, v10
	v_pk_fma_f16 v7, v103, v24, v7
	v_mul_u32_u24_e32 v22, 0x10001, v22
	v_pk_fma_f16 v9, v108, v13, v9
	v_pk_fma_f16 v11, v108, v21, v11
	;; [unrolled: 1-line block ×8, first 2 shown]
	v_and_b32_e32 v13, 0xffff, v122
	v_lshrrev_b32_e32 v21, 16, v122
	v_and_b32_e32 v24, 0xffff, v121
	v_mul_u32_u24_e32 v23, 0x10001, v23
	v_pk_fma_f16 v14, v104, v22, v14
	v_mul_u32_u24_e32 v13, 0x10001, v13
	v_mul_u32_u24_e32 v21, 0x10001, v21
	v_pk_fma_f16 v18, v105, v22, v18
	v_pk_fma_f16 v20, v106, v22, v20
	v_pk_fma_f16 v6, v107, v22, v6
	v_mul_u32_u24_e32 v22, 0x10001, v24
	v_mul_u32_u24_e32 v24, 0x10001, v25
	v_lshrrev_b32_e32 v25, 16, v123
	v_pk_fma_f16 v9, v112, v13, v9
	v_pk_fma_f16 v11, v112, v21, v11
	v_pk_fma_f16 v15, v113, v13, v15
	v_pk_fma_f16 v16, v113, v21, v16
	v_pk_fma_f16 v17, v114, v13, v17
	v_pk_fma_f16 v19, v114, v21, v19
	v_pk_fma_f16 v4, v115, v13, v4
	v_pk_fma_f16 v5, v115, v21, v5
	v_and_b32_e32 v13, 0xffff, v124
	v_lshrrev_b32_e32 v21, 16, v124
	v_pk_fma_f16 v8, v104, v23, v8
	v_pk_fma_f16 v12, v105, v23, v12
	v_pk_fma_f16 v10, v106, v23, v10
	v_pk_fma_f16 v7, v107, v23, v7
	v_and_b32_e32 v23, 0xffff, v123
	v_mul_u32_u24_e32 v13, 0x10001, v13
	v_mul_u32_u24_e32 v21, 0x10001, v21
	v_pk_fma_f16 v14, v108, v22, v14
	v_pk_fma_f16 v18, v109, v22, v18
	v_pk_fma_f16 v20, v110, v22, v20
	v_pk_fma_f16 v6, v111, v22, v6
	v_mul_u32_u24_e32 v22, 0x10001, v23
	v_mul_u32_u24_e32 v23, 0x10001, v25
	v_lshrrev_b32_e32 v25, 16, v125
	v_pk_fma_f16 v9, v116, v13, v9
	v_pk_fma_f16 v11, v116, v21, v11
	v_pk_fma_f16 v15, v117, v13, v15
	v_pk_fma_f16 v16, v117, v21, v16
	v_pk_fma_f16 v17, v118, v13, v17
	v_pk_fma_f16 v19, v118, v21, v19
	v_pk_fma_f16 v4, v119, v13, v4
	v_pk_fma_f16 v5, v119, v21, v5
	v_and_b32_e32 v13, 0xffff, v126
	v_lshrrev_b32_e32 v21, 16, v126
	v_pk_fma_f16 v8, v108, v24, v8
	v_pk_fma_f16 v12, v109, v24, v12
	v_pk_fma_f16 v10, v110, v24, v10
	v_pk_fma_f16 v7, v111, v24, v7
	v_and_b32_e32 v24, 0xffff, v125
	v_mul_u32_u24_e32 v13, 0x10001, v13
	v_mul_u32_u24_e32 v21, 0x10001, v21
	v_pk_fma_f16 v14, v112, v22, v14
	v_pk_fma_f16 v18, v113, v22, v18
	v_pk_fma_f16 v20, v114, v22, v20
	v_pk_fma_f16 v6, v115, v22, v6
	v_mul_u32_u24_e32 v22, 0x10001, v24
	v_mul_u32_u24_e32 v24, 0x10001, v25
	v_lshrrev_b32_e32 v25, 16, v127
	v_pk_fma_f16 v9, v128, v13, v9
	v_pk_fma_f16 v11, v128, v21, v11
	v_pk_fma_f16 v15, v129, v13, v15
	v_pk_fma_f16 v16, v129, v21, v16
	v_pk_fma_f16 v17, v130, v13, v17
	v_pk_fma_f16 v19, v130, v21, v19
	v_pk_fma_f16 v4, v131, v13, v4
	v_pk_fma_f16 v5, v131, v21, v5
	v_and_b32_e32 v13, 0xffff, v144
	v_lshrrev_b32_e32 v21, 16, v144
	v_pk_fma_f16 v8, v112, v23, v8
	v_pk_fma_f16 v12, v113, v23, v12
	v_pk_fma_f16 v10, v114, v23, v10
	v_pk_fma_f16 v7, v115, v23, v7
	v_and_b32_e32 v23, 0xffff, v127
	v_mul_u32_u24_e32 v13, 0x10001, v13
	v_mul_u32_u24_e32 v21, 0x10001, v21
	v_pk_fma_f16 v14, v116, v22, v14
	v_pk_fma_f16 v18, v117, v22, v18
	v_pk_fma_f16 v20, v118, v22, v20
	v_pk_fma_f16 v6, v119, v22, v6
	v_mul_u32_u24_e32 v22, 0x10001, v23
	v_mul_u32_u24_e32 v23, 0x10001, v25
	v_lshrrev_b32_e32 v25, 16, v145
	v_pk_fma_f16 v9, v132, v13, v9
	v_pk_fma_f16 v11, v132, v21, v11
	v_pk_fma_f16 v15, v133, v13, v15
	v_pk_fma_f16 v16, v133, v21, v16
	v_pk_fma_f16 v17, v134, v13, v17
	v_pk_fma_f16 v19, v134, v21, v19
	v_pk_fma_f16 v4, v135, v13, v4
	v_pk_fma_f16 v5, v135, v21, v5
	v_and_b32_e32 v13, 0xffff, v146
	v_lshrrev_b32_e32 v21, 16, v146
	v_pk_fma_f16 v8, v116, v24, v8
	v_pk_fma_f16 v12, v117, v24, v12
	v_pk_fma_f16 v10, v118, v24, v10
	v_pk_fma_f16 v7, v119, v24, v7
	v_and_b32_e32 v24, 0xffff, v145
	v_mul_u32_u24_e32 v13, 0x10001, v13
	v_mul_u32_u24_e32 v21, 0x10001, v21
	v_pk_fma_f16 v14, v128, v22, v14
	v_pk_fma_f16 v8, v128, v23, v8
	v_pk_fma_f16 v18, v129, v22, v18
	;; [unrolled: 1-line block ×6, first 2 shown]
	v_mul_u32_u24_e32 v22, 0x10001, v24
	v_mul_u32_u24_e32 v24, 0x10001, v25
	v_pk_fma_f16 v7, v131, v23, v7
	v_and_b32_e32 v23, 0xffff, v147
	v_lshrrev_b32_e32 v25, 16, v147
	v_pk_fma_f16 v9, v136, v13, v9
	v_pk_fma_f16 v11, v136, v21, v11
	;; [unrolled: 1-line block ×8, first 2 shown]
	v_and_b32_e32 v13, 0xffff, v148
	v_lshrrev_b32_e32 v21, 16, v148
	v_pk_fma_f16 v14, v132, v22, v14
	v_pk_fma_f16 v8, v132, v24, v8
	;; [unrolled: 1-line block ×7, first 2 shown]
	v_mul_u32_u24_e32 v22, 0x10001, v23
	v_mul_u32_u24_e32 v23, 0x10001, v25
	v_pk_fma_f16 v7, v135, v24, v7
	v_and_b32_e32 v24, 0xffff, v149
	v_lshrrev_b32_e32 v25, 16, v149
	v_mul_u32_u24_e32 v13, 0x10001, v13
	v_mul_u32_u24_e32 v21, 0x10001, v21
	v_pk_fma_f16 v14, v136, v22, v14
	v_pk_fma_f16 v8, v136, v23, v8
	;; [unrolled: 1-line block ×7, first 2 shown]
	v_mul_u32_u24_e32 v22, 0x10001, v24
	v_pk_fma_f16 v23, v139, v23, v7
	v_pk_fma_f16 v9, v140, v13, v9
	;; [unrolled: 1-line block ×9, first 2 shown]
	v_and_b32_e32 v4, 0xffff, v150
	v_lshrrev_b32_e32 v5, 16, v150
	v_mul_u32_u24_e32 v24, 0x10001, v25
	v_and_b32_e32 v7, 0xffff, v151
	v_pk_fma_f16 v14, v140, v22, v14
	v_pk_fma_f16 v18, v141, v22, v18
	;; [unrolled: 1-line block ×5, first 2 shown]
	v_mul_u32_u24_e32 v26, 0x10001, v4
	v_mul_u32_u24_e32 v27, 0x10001, v5
	;; [unrolled: 1-line block ×3, first 2 shown]
	s_wait_loadcnt 0x3
	ds_store_b128 v79, v[156:159]
	s_wait_loadcnt 0x2
	ds_store_b128 v80, v[160:163]
	;; [unrolled: 2-line block ×4, first 2 shown]
	s_wait_dscnt 0x0
	s_barrier_signal -1
	s_barrier_wait -1
	ds_load_b128 v[4:7], v78 offset:768
	v_lshrrev_b32_e32 v10, 16, v151
	v_pk_fma_f16 v8, v140, v24, v8
	v_pk_fma_f16 v12, v141, v24, v12
	v_pk_fma_f16 v23, v143, v24, v23
	v_pk_fma_f16 v24, v152, v26, v9
	v_mul_u32_u24_e32 v29, 0x10001, v10
	v_pk_fma_f16 v30, v152, v27, v11
	v_pk_fma_f16 v31, v152, v28, v14
	;; [unrolled: 1-line block ×5, first 2 shown]
	ds_load_2addr_b64 v[8:11], v90 offset1:32
	v_pk_fma_f16 v62, v153, v29, v12
	v_pk_fma_f16 v92, v155, v26, v13
	ds_load_b128 v[12:15], v78 offset:784
	v_pk_fma_f16 v63, v154, v26, v17
	v_pk_fma_f16 v61, v153, v28, v18
	;; [unrolled: 1-line block ×4, first 2 shown]
	s_wait_dscnt 0x2
	v_and_b32_e32 v16, 0xffff, v4
	v_lshrrev_b32_e32 v4, 16, v4
	v_and_b32_e32 v17, 0xffff, v5
	v_lshrrev_b32_e32 v5, 16, v5
	v_pk_fma_f16 v91, v154, v29, v25
	v_mul_u32_u24_e32 v94, 0x10001, v16
	v_pk_fma_f16 v93, v155, v27, v21
	v_pk_fma_f16 v28, v155, v28, v22
	;; [unrolled: 1-line block ×3, first 2 shown]
	v_mul_u32_u24_e32 v4, 0x10001, v4
	v_mul_u32_u24_e32 v100, 0x10001, v17
	;; [unrolled: 1-line block ×3, first 2 shown]
	ds_load_b128 v[16:19], v78 offset:800
	ds_load_b128 v[20:23], v78 offset:816
	s_wait_dscnt 0x3
	v_pk_fma_f16 v101, v8, v94, v24
	ds_load_2addr_b64 v[24:27], v90 offset0:64 offset1:96
	v_pk_fma_f16 v30, v8, v4, v30
	v_pk_fma_f16 v31, v8, v100, v31
	;; [unrolled: 1-line block ×12, first 2 shown]
	v_and_b32_e32 v4, 0xffff, v6
	v_lshrrev_b32_e32 v6, 16, v6
	v_and_b32_e32 v91, 0xffff, v7
	v_lshrrev_b32_e32 v7, 16, v7
	v_pk_fma_f16 v64, v11, v94, v92
	v_pk_fma_f16 v28, v11, v100, v28
	v_mul_u32_u24_e32 v92, 0x10001, v4
	v_mul_u32_u24_e32 v93, 0x10001, v6
	;; [unrolled: 1-line block ×3, first 2 shown]
	v_pk_fma_f16 v11, v11, v5, v29
	ds_load_2addr_b64 v[4:7], v90 offset0:128 offset1:160
	v_mul_u32_u24_e32 v91, 0x10001, v91
	s_wait_dscnt 0x1
	v_pk_fma_f16 v29, v24, v92, v101
	v_pk_fma_f16 v30, v24, v93, v30
	;; [unrolled: 1-line block ×12, first 2 shown]
	v_and_b32_e32 v9, 0xffff, v12
	v_lshrrev_b32_e32 v10, 16, v12
	v_and_b32_e32 v12, 0xffff, v13
	v_lshrrev_b32_e32 v13, 16, v13
	v_pk_fma_f16 v63, v27, v92, v64
	v_pk_fma_f16 v64, v27, v93, v65
	;; [unrolled: 1-line block ×3, first 2 shown]
	v_mul_u32_u24_e32 v65, 0x10001, v9
	v_mul_u32_u24_e32 v91, 0x10001, v10
	;; [unrolled: 1-line block ×4, first 2 shown]
	v_pk_fma_f16 v27, v27, v94, v11
	s_wait_dscnt 0x0
	v_pk_fma_f16 v29, v4, v65, v29
	v_pk_fma_f16 v30, v4, v91, v30
	;; [unrolled: 1-line block ×4, first 2 shown]
	ds_load_2addr_b64 v[8:11], v90 offset0:192 offset1:224
	v_pk_fma_f16 v24, v5, v65, v24
	v_pk_fma_f16 v58, v5, v91, v58
	;; [unrolled: 1-line block ×8, first 2 shown]
	v_and_b32_e32 v5, 0xffff, v14
	v_lshrrev_b32_e32 v6, 16, v14
	v_and_b32_e32 v14, 0xffff, v15
	v_lshrrev_b32_e32 v15, 16, v15
	v_pk_fma_f16 v63, v7, v65, v63
	v_pk_fma_f16 v12, v7, v12, v28
	v_mul_u32_u24_e32 v28, 0x10001, v5
	v_mul_u32_u24_e32 v65, 0x10001, v6
	;; [unrolled: 1-line block ×4, first 2 shown]
	v_pk_fma_f16 v64, v7, v91, v64
	v_pk_fma_f16 v13, v7, v13, v27
	s_wait_dscnt 0x0
	v_pk_fma_f16 v27, v8, v28, v29
	v_pk_fma_f16 v29, v8, v65, v30
	;; [unrolled: 1-line block ×4, first 2 shown]
	ds_load_2addr_b64 v[4:7], v88 offset1:32
	v_pk_fma_f16 v24, v9, v28, v24
	v_pk_fma_f16 v31, v9, v65, v58
	;; [unrolled: 1-line block ×8, first 2 shown]
	v_and_b32_e32 v9, 0xffff, v16
	v_lshrrev_b32_e32 v10, 16, v16
	v_and_b32_e32 v16, 0xffff, v17
	v_lshrrev_b32_e32 v17, 16, v17
	v_pk_fma_f16 v28, v11, v28, v63
	v_pk_fma_f16 v12, v11, v14, v12
	v_mul_u32_u24_e32 v14, 0x10001, v9
	v_mul_u32_u24_e32 v63, 0x10001, v10
	;; [unrolled: 1-line block ×4, first 2 shown]
	v_pk_fma_f16 v62, v11, v65, v64
	v_pk_fma_f16 v13, v11, v15, v13
	s_wait_dscnt 0x0
	v_pk_fma_f16 v15, v4, v14, v27
	v_pk_fma_f16 v27, v4, v63, v29
	;; [unrolled: 1-line block ×4, first 2 shown]
	ds_load_2addr_b64 v[8:11], v88 offset0:64 offset1:96
	v_pk_fma_f16 v24, v5, v14, v24
	v_pk_fma_f16 v30, v5, v63, v31
	;; [unrolled: 1-line block ×8, first 2 shown]
	v_and_b32_e32 v5, 0xffff, v18
	v_lshrrev_b32_e32 v6, 16, v18
	v_and_b32_e32 v18, 0xffff, v19
	v_lshrrev_b32_e32 v19, 16, v19
	v_pk_fma_f16 v12, v7, v16, v12
	v_mul_u32_u24_e32 v16, 0x10001, v5
	v_mul_u32_u24_e32 v61, 0x10001, v6
	;; [unrolled: 1-line block ×4, first 2 shown]
	v_pk_fma_f16 v14, v7, v14, v28
	v_pk_fma_f16 v28, v7, v63, v62
	;; [unrolled: 1-line block ×3, first 2 shown]
	s_wait_dscnt 0x0
	v_pk_fma_f16 v15, v8, v16, v15
	v_pk_fma_f16 v17, v8, v61, v27
	;; [unrolled: 1-line block ×4, first 2 shown]
	ds_load_2addr_b64 v[4:7], v88 offset0:128 offset1:160
	v_pk_fma_f16 v24, v9, v16, v24
	v_pk_fma_f16 v29, v9, v61, v30
	;; [unrolled: 1-line block ×8, first 2 shown]
	v_and_b32_e32 v9, 0xffff, v20
	v_lshrrev_b32_e32 v10, 16, v20
	v_and_b32_e32 v20, 0xffff, v21
	v_lshrrev_b32_e32 v21, 16, v21
	v_pk_fma_f16 v14, v11, v16, v14
	v_pk_fma_f16 v16, v11, v61, v28
	;; [unrolled: 1-line block ×3, first 2 shown]
	v_mul_u32_u24_e32 v18, 0x10001, v9
	v_mul_u32_u24_e32 v28, 0x10001, v10
	;; [unrolled: 1-line block ×4, first 2 shown]
	v_pk_fma_f16 v19, v11, v19, v13
	s_wait_dscnt 0x0
	v_pk_fma_f16 v60, v4, v18, v15
	v_pk_fma_f16 v17, v4, v28, v17
	;; [unrolled: 1-line block ×4, first 2 shown]
	ds_load_2addr_b64 v[8:11], v88 offset0:192 offset1:224
	v_pk_fma_f16 v24, v5, v18, v24
	v_pk_fma_f16 v29, v5, v28, v29
	;; [unrolled: 1-line block ×8, first 2 shown]
	v_and_b32_e32 v5, 0xffff, v22
	v_lshrrev_b32_e32 v6, 16, v22
	v_pk_fma_f16 v18, v7, v18, v14
	v_pk_fma_f16 v16, v7, v28, v16
	;; [unrolled: 1-line block ×3, first 2 shown]
	v_mul_u32_u24_e32 v28, 0x10001, v5
	v_mul_u32_u24_e32 v61, 0x10001, v6
	v_and_b32_e32 v22, 0xffff, v23
	ds_load_b128 v[12:15], v78 offset:832
	v_pk_fma_f16 v21, v7, v21, v19
	s_wait_dscnt 0x1
	v_pk_fma_f16 v60, v8, v28, v60
	v_pk_fma_f16 v62, v8, v61, v17
	;; [unrolled: 1-line block ×8, first 2 shown]
	ds_load_b128 v[16:19], v78 offset:848
	v_lshrrev_b32_e32 v23, 16, v23
	v_mul_u32_u24_e32 v22, 0x10001, v22
	s_delay_alu instid0(VALU_DEP_2) | instskip(NEXT) | instid1(VALU_DEP_2)
	v_mul_u32_u24_e32 v23, 0x10001, v23
	v_pk_fma_f16 v27, v8, v22, v27
	v_pk_fma_f16 v30, v9, v22, v30
	;; [unrolled: 1-line block ×5, first 2 shown]
	ds_load_2addr_b64 v[4:7], v84 offset1:32
	v_pk_fma_f16 v25, v9, v23, v25
	v_pk_fma_f16 v26, v10, v23, v26
	s_wait_dscnt 0x2
	v_and_b32_e32 v9, 0xffff, v12
	v_lshrrev_b32_e32 v10, 16, v12
	v_and_b32_e32 v12, 0xffff, v13
	v_lshrrev_b32_e32 v13, 16, v13
	v_pk_fma_f16 v21, v11, v23, v21
	v_mul_u32_u24_e32 v22, 0x10001, v9
	v_mul_u32_u24_e32 v63, 0x10001, v10
	;; [unrolled: 1-line block ×4, first 2 shown]
	s_wait_dscnt 0x0
	v_pk_fma_f16 v23, v4, v22, v60
	v_pk_fma_f16 v60, v4, v63, v62
	v_pk_fma_f16 v27, v4, v12, v27
	v_pk_fma_f16 v4, v4, v13, v8
	ds_load_2addr_b64 v[8:11], v84 offset0:64 offset1:96
	v_pk_fma_f16 v24, v5, v22, v24
	v_pk_fma_f16 v29, v5, v63, v29
	v_pk_fma_f16 v30, v5, v12, v30
	v_pk_fma_f16 v25, v5, v13, v25
	v_pk_fma_f16 v31, v6, v22, v31
	v_pk_fma_f16 v58, v6, v63, v58
	v_pk_fma_f16 v59, v6, v12, v59
	v_pk_fma_f16 v26, v6, v13, v26
	v_and_b32_e32 v5, 0xffff, v14
	v_lshrrev_b32_e32 v6, 16, v14
	v_and_b32_e32 v14, 0xffff, v15
	v_lshrrev_b32_e32 v15, 16, v15
	v_pk_fma_f16 v22, v7, v22, v28
	v_pk_fma_f16 v28, v7, v63, v61
	;; [unrolled: 1-line block ×3, first 2 shown]
	v_mul_u32_u24_e32 v20, 0x10001, v5
	v_mul_u32_u24_e32 v61, 0x10001, v6
	;; [unrolled: 1-line block ×4, first 2 shown]
	v_pk_fma_f16 v13, v7, v13, v21
	s_wait_dscnt 0x0
	v_pk_fma_f16 v21, v8, v20, v23
	v_pk_fma_f16 v23, v8, v61, v60
	;; [unrolled: 1-line block ×4, first 2 shown]
	ds_load_2addr_b64 v[4:7], v84 offset0:128 offset1:160
	v_pk_fma_f16 v24, v9, v20, v24
	v_pk_fma_f16 v29, v9, v61, v29
	;; [unrolled: 1-line block ×8, first 2 shown]
	v_and_b32_e32 v9, 0xffff, v16
	v_lshrrev_b32_e32 v10, 16, v16
	v_and_b32_e32 v16, 0xffff, v17
	v_lshrrev_b32_e32 v17, 16, v17
	v_pk_fma_f16 v20, v11, v20, v22
	v_pk_fma_f16 v22, v11, v61, v28
	;; [unrolled: 1-line block ×3, first 2 shown]
	v_mul_u32_u24_e32 v14, 0x10001, v9
	v_mul_u32_u24_e32 v28, 0x10001, v10
	;; [unrolled: 1-line block ×4, first 2 shown]
	v_pk_fma_f16 v60, v11, v15, v13
	s_wait_dscnt 0x0
	v_pk_fma_f16 v21, v4, v14, v21
	v_pk_fma_f16 v23, v4, v28, v23
	;; [unrolled: 1-line block ×4, first 2 shown]
	ds_load_2addr_b64 v[8:11], v84 offset0:192 offset1:224
	v_pk_fma_f16 v24, v5, v14, v24
	v_pk_fma_f16 v29, v5, v28, v29
	;; [unrolled: 1-line block ×10, first 2 shown]
	v_and_b32_e32 v5, 0xffff, v18
	v_lshrrev_b32_e32 v6, 16, v18
	v_pk_fma_f16 v28, v7, v16, v12
	v_and_b32_e32 v16, 0xffff, v19
	ds_load_b128 v[12:15], v78 offset:864
	v_lshrrev_b32_e32 v18, 16, v19
	v_mul_u32_u24_e32 v19, 0x10001, v5
	v_mul_u32_u24_e32 v61, 0x10001, v6
	;; [unrolled: 1-line block ×3, first 2 shown]
	v_pk_fma_f16 v60, v7, v17, v60
	v_mul_u32_u24_e32 v63, 0x10001, v18
	s_wait_dscnt 0x1
	v_pk_fma_f16 v21, v8, v19, v21
	v_pk_fma_f16 v23, v8, v61, v23
	;; [unrolled: 1-line block ×5, first 2 shown]
	ds_load_2addr_b64 v[4:7], v85 offset1:32
	v_pk_fma_f16 v29, v9, v61, v29
	v_pk_fma_f16 v30, v9, v62, v30
	v_pk_fma_f16 v25, v9, v63, v25
	v_pk_fma_f16 v31, v10, v19, v31
	v_pk_fma_f16 v58, v10, v61, v58
	v_pk_fma_f16 v59, v10, v62, v59
	v_pk_fma_f16 v26, v10, v63, v26
	v_pk_fma_f16 v20, v11, v19, v20
	ds_load_b128 v[16:19], v78 offset:880
	s_wait_dscnt 0x2
	v_and_b32_e32 v9, 0xffff, v12
	v_lshrrev_b32_e32 v10, 16, v12
	v_and_b32_e32 v12, 0xffff, v13
	v_lshrrev_b32_e32 v13, 16, v13
	v_pk_fma_f16 v22, v11, v61, v22
	v_pk_fma_f16 v28, v11, v62, v28
	v_mul_u32_u24_e32 v61, 0x10001, v9
	v_mul_u32_u24_e32 v62, 0x10001, v10
	v_mul_u32_u24_e32 v12, 0x10001, v12
	v_mul_u32_u24_e32 v13, 0x10001, v13
	v_pk_fma_f16 v60, v11, v63, v60
	s_wait_dscnt 0x1
	v_pk_fma_f16 v21, v4, v61, v21
	v_pk_fma_f16 v23, v4, v62, v23
	;; [unrolled: 1-line block ×4, first 2 shown]
	ds_load_2addr_b64 v[8:11], v85 offset0:64 offset1:96
	v_pk_fma_f16 v24, v5, v61, v24
	v_pk_fma_f16 v29, v5, v62, v29
	;; [unrolled: 1-line block ×8, first 2 shown]
	v_and_b32_e32 v5, 0xffff, v14
	v_lshrrev_b32_e32 v6, 16, v14
	v_and_b32_e32 v14, 0xffff, v15
	v_lshrrev_b32_e32 v15, 16, v15
	v_pk_fma_f16 v20, v7, v61, v20
	v_pk_fma_f16 v12, v7, v12, v28
	v_mul_u32_u24_e32 v28, 0x10001, v5
	v_mul_u32_u24_e32 v61, 0x10001, v6
	;; [unrolled: 1-line block ×4, first 2 shown]
	v_pk_fma_f16 v22, v7, v62, v22
	v_pk_fma_f16 v13, v7, v13, v60
	s_wait_dscnt 0x0
	v_pk_fma_f16 v21, v8, v28, v21
	v_pk_fma_f16 v23, v8, v61, v23
	;; [unrolled: 1-line block ×4, first 2 shown]
	ds_load_2addr_b64 v[4:7], v85 offset0:128 offset1:160
	v_pk_fma_f16 v24, v9, v28, v24
	v_pk_fma_f16 v29, v9, v61, v29
	;; [unrolled: 1-line block ×8, first 2 shown]
	v_and_b32_e32 v9, 0xffff, v16
	v_lshrrev_b32_e32 v10, 16, v16
	v_and_b32_e32 v16, 0xffff, v17
	v_lshrrev_b32_e32 v17, 16, v17
	v_pk_fma_f16 v20, v11, v28, v20
	v_pk_fma_f16 v12, v11, v14, v12
	v_mul_u32_u24_e32 v14, 0x10001, v9
	v_mul_u32_u24_e32 v28, 0x10001, v10
	;; [unrolled: 1-line block ×4, first 2 shown]
	v_pk_fma_f16 v22, v11, v61, v22
	v_pk_fma_f16 v60, v11, v15, v13
	s_wait_dscnt 0x0
	v_pk_fma_f16 v21, v4, v14, v21
	v_pk_fma_f16 v23, v4, v28, v23
	;; [unrolled: 1-line block ×4, first 2 shown]
	ds_load_2addr_b64 v[8:11], v85 offset0:192 offset1:224
	v_pk_fma_f16 v24, v5, v14, v24
	v_pk_fma_f16 v29, v5, v28, v29
	;; [unrolled: 1-line block ×10, first 2 shown]
	v_and_b32_e32 v5, 0xffff, v18
	v_lshrrev_b32_e32 v6, 16, v18
	v_pk_fma_f16 v28, v7, v16, v12
	v_and_b32_e32 v16, 0xffff, v19
	ds_load_b128 v[12:15], v78 offset:896
	v_lshrrev_b32_e32 v18, 16, v19
	v_mul_u32_u24_e32 v19, 0x10001, v5
	v_mul_u32_u24_e32 v61, 0x10001, v6
	;; [unrolled: 1-line block ×3, first 2 shown]
	v_pk_fma_f16 v60, v7, v17, v60
	v_mul_u32_u24_e32 v63, 0x10001, v18
	s_wait_dscnt 0x1
	v_pk_fma_f16 v21, v8, v19, v21
	v_pk_fma_f16 v23, v8, v61, v23
	;; [unrolled: 1-line block ×5, first 2 shown]
	ds_load_2addr_b64 v[4:7], v86 offset1:32
	v_pk_fma_f16 v29, v9, v61, v29
	v_pk_fma_f16 v30, v9, v62, v30
	;; [unrolled: 1-line block ×8, first 2 shown]
	ds_load_b128 v[16:19], v78 offset:912
	s_wait_dscnt 0x2
	v_and_b32_e32 v9, 0xffff, v12
	v_lshrrev_b32_e32 v10, 16, v12
	v_and_b32_e32 v12, 0xffff, v13
	v_lshrrev_b32_e32 v13, 16, v13
	v_pk_fma_f16 v22, v11, v61, v22
	v_pk_fma_f16 v28, v11, v62, v28
	v_mul_u32_u24_e32 v61, 0x10001, v9
	v_mul_u32_u24_e32 v62, 0x10001, v10
	;; [unrolled: 1-line block ×4, first 2 shown]
	v_pk_fma_f16 v60, v11, v63, v60
	s_wait_dscnt 0x1
	v_pk_fma_f16 v21, v4, v61, v21
	v_pk_fma_f16 v23, v4, v62, v23
	;; [unrolled: 1-line block ×4, first 2 shown]
	ds_load_2addr_b64 v[8:11], v86 offset0:64 offset1:96
	v_pk_fma_f16 v24, v5, v61, v24
	v_pk_fma_f16 v29, v5, v62, v29
	;; [unrolled: 1-line block ×8, first 2 shown]
	v_and_b32_e32 v5, 0xffff, v14
	v_lshrrev_b32_e32 v6, 16, v14
	v_and_b32_e32 v14, 0xffff, v15
	v_lshrrev_b32_e32 v15, 16, v15
	v_pk_fma_f16 v20, v7, v61, v20
	v_pk_fma_f16 v12, v7, v12, v28
	v_mul_u32_u24_e32 v28, 0x10001, v5
	v_mul_u32_u24_e32 v61, 0x10001, v6
	;; [unrolled: 1-line block ×4, first 2 shown]
	v_pk_fma_f16 v22, v7, v62, v22
	v_pk_fma_f16 v13, v7, v13, v60
	s_wait_dscnt 0x0
	v_pk_fma_f16 v21, v8, v28, v21
	v_pk_fma_f16 v23, v8, v61, v23
	;; [unrolled: 1-line block ×4, first 2 shown]
	ds_load_2addr_b64 v[4:7], v86 offset0:128 offset1:160
	v_pk_fma_f16 v24, v9, v28, v24
	v_pk_fma_f16 v29, v9, v61, v29
	v_pk_fma_f16 v30, v9, v14, v30
	v_pk_fma_f16 v25, v9, v15, v25
	v_pk_fma_f16 v31, v10, v28, v31
	v_pk_fma_f16 v58, v10, v61, v58
	v_pk_fma_f16 v59, v10, v14, v59
	v_pk_fma_f16 v26, v10, v15, v26
	v_and_b32_e32 v9, 0xffff, v16
	v_lshrrev_b32_e32 v10, 16, v16
	v_and_b32_e32 v16, 0xffff, v17
	v_lshrrev_b32_e32 v17, 16, v17
	v_pk_fma_f16 v20, v11, v28, v20
	v_pk_fma_f16 v12, v11, v14, v12
	v_mul_u32_u24_e32 v14, 0x10001, v9
	v_mul_u32_u24_e32 v28, 0x10001, v10
	;; [unrolled: 1-line block ×4, first 2 shown]
	v_pk_fma_f16 v22, v11, v61, v22
	v_pk_fma_f16 v60, v11, v15, v13
	s_wait_dscnt 0x0
	v_pk_fma_f16 v21, v4, v14, v21
	v_pk_fma_f16 v23, v4, v28, v23
	v_pk_fma_f16 v27, v4, v16, v27
	v_pk_fma_f16 v4, v4, v17, v8
	ds_load_2addr_b64 v[8:11], v86 offset0:192 offset1:224
	v_pk_fma_f16 v24, v5, v14, v24
	v_pk_fma_f16 v29, v5, v28, v29
	;; [unrolled: 1-line block ×10, first 2 shown]
	v_and_b32_e32 v5, 0xffff, v18
	v_lshrrev_b32_e32 v6, 16, v18
	v_pk_fma_f16 v28, v7, v16, v12
	v_and_b32_e32 v16, 0xffff, v19
	ds_load_b128 v[12:15], v78 offset:928
	v_lshrrev_b32_e32 v18, 16, v19
	v_mul_u32_u24_e32 v19, 0x10001, v5
	v_mul_u32_u24_e32 v61, 0x10001, v6
	;; [unrolled: 1-line block ×3, first 2 shown]
	v_pk_fma_f16 v60, v7, v17, v60
	v_mul_u32_u24_e32 v63, 0x10001, v18
	s_wait_dscnt 0x1
	v_pk_fma_f16 v21, v8, v19, v21
	v_pk_fma_f16 v23, v8, v61, v23
	;; [unrolled: 1-line block ×5, first 2 shown]
	ds_load_2addr_b64 v[4:7], v87 offset1:32
	v_pk_fma_f16 v29, v9, v61, v29
	v_pk_fma_f16 v30, v9, v62, v30
	;; [unrolled: 1-line block ×8, first 2 shown]
	ds_load_b128 v[16:19], v78 offset:944
	s_wait_dscnt 0x2
	v_and_b32_e32 v9, 0xffff, v12
	v_lshrrev_b32_e32 v10, 16, v12
	v_and_b32_e32 v12, 0xffff, v13
	v_lshrrev_b32_e32 v13, 16, v13
	v_pk_fma_f16 v22, v11, v61, v22
	v_pk_fma_f16 v28, v11, v62, v28
	v_mul_u32_u24_e32 v61, 0x10001, v9
	v_mul_u32_u24_e32 v62, 0x10001, v10
	v_mul_u32_u24_e32 v12, 0x10001, v12
	v_mul_u32_u24_e32 v13, 0x10001, v13
	v_pk_fma_f16 v60, v11, v63, v60
	s_wait_dscnt 0x1
	v_pk_fma_f16 v21, v4, v61, v21
	v_pk_fma_f16 v23, v4, v62, v23
	;; [unrolled: 1-line block ×4, first 2 shown]
	ds_load_2addr_b64 v[8:11], v87 offset0:64 offset1:96
	v_pk_fma_f16 v24, v5, v61, v24
	v_pk_fma_f16 v29, v5, v62, v29
	;; [unrolled: 1-line block ×8, first 2 shown]
	v_and_b32_e32 v5, 0xffff, v14
	v_lshrrev_b32_e32 v6, 16, v14
	v_and_b32_e32 v14, 0xffff, v15
	v_lshrrev_b32_e32 v15, 16, v15
	v_pk_fma_f16 v20, v7, v61, v20
	v_pk_fma_f16 v12, v7, v12, v28
	v_mul_u32_u24_e32 v28, 0x10001, v5
	v_mul_u32_u24_e32 v61, 0x10001, v6
	;; [unrolled: 1-line block ×4, first 2 shown]
	v_pk_fma_f16 v22, v7, v62, v22
	v_pk_fma_f16 v13, v7, v13, v60
	s_wait_dscnt 0x0
	v_pk_fma_f16 v21, v8, v28, v21
	v_pk_fma_f16 v23, v8, v61, v23
	;; [unrolled: 1-line block ×4, first 2 shown]
	ds_load_2addr_b64 v[4:7], v87 offset0:128 offset1:160
	v_pk_fma_f16 v24, v9, v28, v24
	v_pk_fma_f16 v29, v9, v61, v29
	;; [unrolled: 1-line block ×8, first 2 shown]
	v_and_b32_e32 v9, 0xffff, v16
	v_lshrrev_b32_e32 v10, 16, v16
	v_and_b32_e32 v16, 0xffff, v17
	v_lshrrev_b32_e32 v17, 16, v17
	v_pk_fma_f16 v20, v11, v28, v20
	v_pk_fma_f16 v12, v11, v14, v12
	v_mul_u32_u24_e32 v14, 0x10001, v9
	v_mul_u32_u24_e32 v28, 0x10001, v10
	;; [unrolled: 1-line block ×4, first 2 shown]
	v_pk_fma_f16 v22, v11, v61, v22
	v_pk_fma_f16 v60, v11, v15, v13
	s_wait_dscnt 0x0
	v_pk_fma_f16 v21, v4, v14, v21
	v_pk_fma_f16 v23, v4, v28, v23
	;; [unrolled: 1-line block ×4, first 2 shown]
	ds_load_2addr_b64 v[8:11], v87 offset0:192 offset1:224
	v_pk_fma_f16 v24, v5, v14, v24
	v_pk_fma_f16 v29, v5, v28, v29
	;; [unrolled: 1-line block ×10, first 2 shown]
	v_and_b32_e32 v5, 0xffff, v18
	v_lshrrev_b32_e32 v6, 16, v18
	v_pk_fma_f16 v28, v7, v16, v12
	v_and_b32_e32 v16, 0xffff, v19
	ds_load_b128 v[12:15], v78 offset:960
	v_lshrrev_b32_e32 v18, 16, v19
	v_mul_u32_u24_e32 v19, 0x10001, v5
	v_mul_u32_u24_e32 v61, 0x10001, v6
	;; [unrolled: 1-line block ×3, first 2 shown]
	v_pk_fma_f16 v60, v7, v17, v60
	v_mul_u32_u24_e32 v63, 0x10001, v18
	s_wait_dscnt 0x1
	v_pk_fma_f16 v21, v8, v19, v21
	v_pk_fma_f16 v23, v8, v61, v23
	;; [unrolled: 1-line block ×5, first 2 shown]
	ds_load_2addr_b64 v[4:7], v89 offset1:32
	v_pk_fma_f16 v29, v9, v61, v29
	v_pk_fma_f16 v30, v9, v62, v30
	;; [unrolled: 1-line block ×8, first 2 shown]
	ds_load_b128 v[16:19], v78 offset:976
	s_wait_dscnt 0x2
	v_and_b32_e32 v9, 0xffff, v12
	v_lshrrev_b32_e32 v10, 16, v12
	v_and_b32_e32 v12, 0xffff, v13
	v_lshrrev_b32_e32 v13, 16, v13
	v_pk_fma_f16 v22, v11, v61, v22
	v_pk_fma_f16 v28, v11, v62, v28
	v_mul_u32_u24_e32 v61, 0x10001, v9
	v_mul_u32_u24_e32 v62, 0x10001, v10
	;; [unrolled: 1-line block ×4, first 2 shown]
	v_pk_fma_f16 v60, v11, v63, v60
	s_wait_dscnt 0x1
	v_pk_fma_f16 v21, v4, v61, v21
	v_pk_fma_f16 v23, v4, v62, v23
	;; [unrolled: 1-line block ×4, first 2 shown]
	ds_load_2addr_b64 v[8:11], v89 offset0:64 offset1:96
	v_pk_fma_f16 v24, v5, v61, v24
	v_pk_fma_f16 v29, v5, v62, v29
	;; [unrolled: 1-line block ×8, first 2 shown]
	v_and_b32_e32 v5, 0xffff, v14
	v_lshrrev_b32_e32 v6, 16, v14
	v_and_b32_e32 v14, 0xffff, v15
	v_lshrrev_b32_e32 v15, 16, v15
	v_pk_fma_f16 v20, v7, v61, v20
	v_pk_fma_f16 v12, v7, v12, v28
	v_mul_u32_u24_e32 v28, 0x10001, v5
	v_mul_u32_u24_e32 v61, 0x10001, v6
	;; [unrolled: 1-line block ×4, first 2 shown]
	v_pk_fma_f16 v22, v7, v62, v22
	v_pk_fma_f16 v13, v7, v13, v60
	s_wait_dscnt 0x0
	v_pk_fma_f16 v21, v8, v28, v21
	v_pk_fma_f16 v23, v8, v61, v23
	;; [unrolled: 1-line block ×4, first 2 shown]
	ds_load_2addr_b64 v[4:7], v89 offset0:128 offset1:160
	v_pk_fma_f16 v24, v9, v28, v24
	v_pk_fma_f16 v29, v9, v61, v29
	;; [unrolled: 1-line block ×8, first 2 shown]
	v_and_b32_e32 v9, 0xffff, v16
	v_lshrrev_b32_e32 v10, 16, v16
	v_and_b32_e32 v16, 0xffff, v17
	v_lshrrev_b32_e32 v17, 16, v17
	v_pk_fma_f16 v20, v11, v28, v20
	v_pk_fma_f16 v12, v11, v14, v12
	v_mul_u32_u24_e32 v14, 0x10001, v9
	v_mul_u32_u24_e32 v28, 0x10001, v10
	;; [unrolled: 1-line block ×4, first 2 shown]
	v_pk_fma_f16 v22, v11, v61, v22
	v_pk_fma_f16 v60, v11, v15, v13
	s_wait_dscnt 0x0
	v_pk_fma_f16 v21, v4, v14, v21
	v_pk_fma_f16 v23, v4, v28, v23
	;; [unrolled: 1-line block ×4, first 2 shown]
	ds_load_2addr_b64 v[8:11], v89 offset0:192 offset1:224
	v_pk_fma_f16 v24, v5, v14, v24
	v_pk_fma_f16 v29, v5, v28, v29
	;; [unrolled: 1-line block ×10, first 2 shown]
	v_and_b32_e32 v5, 0xffff, v18
	v_lshrrev_b32_e32 v6, 16, v18
	v_pk_fma_f16 v28, v7, v16, v12
	v_and_b32_e32 v16, 0xffff, v19
	ds_load_b128 v[12:15], v78 offset:992
	v_lshrrev_b32_e32 v18, 16, v19
	v_mul_u32_u24_e32 v19, 0x10001, v5
	v_mul_u32_u24_e32 v61, 0x10001, v6
	;; [unrolled: 1-line block ×3, first 2 shown]
	v_pk_fma_f16 v60, v7, v17, v60
	v_mul_u32_u24_e32 v63, 0x10001, v18
	s_wait_dscnt 0x1
	v_pk_fma_f16 v21, v8, v19, v21
	v_pk_fma_f16 v23, v8, v61, v23
	;; [unrolled: 1-line block ×5, first 2 shown]
	ds_load_2addr_b64 v[4:7], v83 offset1:32
	v_pk_fma_f16 v29, v9, v61, v29
	v_pk_fma_f16 v30, v9, v62, v30
	;; [unrolled: 1-line block ×8, first 2 shown]
	ds_load_b128 v[16:19], v78 offset:1008
	s_wait_dscnt 0x2
	v_and_b32_e32 v9, 0xffff, v12
	v_lshrrev_b32_e32 v10, 16, v12
	v_and_b32_e32 v12, 0xffff, v13
	v_lshrrev_b32_e32 v13, 16, v13
	v_pk_fma_f16 v22, v11, v61, v22
	v_pk_fma_f16 v28, v11, v62, v28
	v_mul_u32_u24_e32 v61, 0x10001, v9
	v_mul_u32_u24_e32 v62, 0x10001, v10
	;; [unrolled: 1-line block ×4, first 2 shown]
	v_pk_fma_f16 v60, v11, v63, v60
	s_wait_dscnt 0x1
	v_pk_fma_f16 v21, v4, v61, v21
	v_pk_fma_f16 v23, v4, v62, v23
	;; [unrolled: 1-line block ×4, first 2 shown]
	ds_load_2addr_b64 v[8:11], v83 offset0:64 offset1:96
	v_pk_fma_f16 v24, v5, v61, v24
	v_pk_fma_f16 v29, v5, v62, v29
	;; [unrolled: 1-line block ×8, first 2 shown]
	v_and_b32_e32 v5, 0xffff, v14
	v_lshrrev_b32_e32 v6, 16, v14
	v_and_b32_e32 v14, 0xffff, v15
	v_lshrrev_b32_e32 v15, 16, v15
	v_pk_fma_f16 v20, v7, v61, v20
	v_pk_fma_f16 v12, v7, v12, v28
	v_mul_u32_u24_e32 v28, 0x10001, v5
	v_mul_u32_u24_e32 v61, 0x10001, v6
	;; [unrolled: 1-line block ×4, first 2 shown]
	v_pk_fma_f16 v22, v7, v62, v22
	v_pk_fma_f16 v13, v7, v13, v60
	s_wait_dscnt 0x0
	v_pk_fma_f16 v21, v8, v28, v21
	v_pk_fma_f16 v23, v8, v61, v23
	;; [unrolled: 1-line block ×4, first 2 shown]
	ds_load_2addr_b64 v[4:7], v83 offset0:128 offset1:160
	v_pk_fma_f16 v24, v9, v28, v24
	v_pk_fma_f16 v29, v9, v61, v29
	;; [unrolled: 1-line block ×8, first 2 shown]
	v_and_b32_e32 v10, 0xffff, v16
	v_pk_fma_f16 v20, v11, v28, v20
	v_lshrrev_b32_e32 v16, 16, v16
	v_and_b32_e32 v28, 0xffff, v17
	v_lshrrev_b32_e32 v17, 16, v17
	v_pk_fma_f16 v12, v11, v14, v12
	v_mul_u32_u24_e32 v14, 0x10001, v10
	v_mul_u32_u24_e32 v16, 0x10001, v16
	;; [unrolled: 1-line block ×3, first 2 shown]
	v_pk_fma_f16 v13, v11, v15, v13
	v_pk_fma_f16 v22, v11, v61, v22
	s_wait_dscnt 0x0
	v_pk_fma_f16 v15, v4, v14, v21
	v_pk_fma_f16 v24, v5, v14, v24
	;; [unrolled: 1-line block ×4, first 2 shown]
	v_and_b32_e32 v20, 0xffff, v18
	v_lshrrev_b32_e32 v18, 16, v18
	v_mul_u32_u24_e32 v17, 0x10001, v17
	v_pk_fma_f16 v21, v4, v16, v23
	v_pk_fma_f16 v23, v4, v28, v27
	v_pk_fma_f16 v27, v5, v16, v29
	v_pk_fma_f16 v29, v5, v28, v30
	v_pk_fma_f16 v4, v4, v17, v8
	v_pk_fma_f16 v5, v5, v17, v9
	ds_load_2addr_b64 v[8:11], v83 offset0:192 offset1:224
	s_wait_dscnt 0x0
	s_barrier_signal -1
	s_barrier_wait -1
	s_load_b32 s5, s[20:21], 0x4
	v_pk_fma_f16 v30, v6, v16, v31
	v_pk_fma_f16 v16, v7, v16, v22
	v_lshrrev_b32_e32 v22, 16, v19
	v_and_b32_e32 v19, 0xffff, v19
	v_pk_fma_f16 v31, v6, v28, v58
	v_pk_fma_f16 v6, v6, v17, v26
	;; [unrolled: 1-line block ×3, first 2 shown]
	v_mul_u32_u24_e32 v20, 0x10001, v20
	v_mul_u32_u24_e32 v18, 0x10001, v18
	;; [unrolled: 1-line block ×4, first 2 shown]
	v_pk_fma_f16 v7, v7, v17, v13
	v_pk_fma_f16 v91, v8, v20, v15
	;; [unrolled: 1-line block ×6, first 2 shown]
	s_wait_kmcnt 0x0
	s_lshl_b32 s5, s5, 7
	v_pk_fma_f16 v90, v9, v18, v27
	v_pk_fma_f16 v63, v9, v19, v29
	;; [unrolled: 1-line block ×11, first 2 shown]
	s_add_co_i32 s4, s5, s4
	s_delay_alu instid0(SALU_CYCLE_1)
	s_cmp_ge_i32 s4, s28
	s_cbranch_scc1 .LBB5_83
; %bb.82:                               ;   in Loop: Header=BB5_17 Depth=1
	v_dual_mov_b32 v93, v0 :: v_dual_mov_b32 v94, v1
	v_dual_mov_b32 v60, v2 :: v_dual_mov_b32 v61, v3
	s_branch .LBB5_17
.LBB5_83:
	v_mov_b32_e32 v4, v70
.LBB5_84:
	v_cmp_lt_i32_e32 vcc_lo, v99, v71
	s_cmp_lg_u64 s[12:13], 0
	s_cselect_b32 s3, -1, 0
	s_cmp_eq_u32 s29, 0
	v_cndmask_b32_e32 v5, v4, v99, vcc_lo
	v_cmp_lt_i32_e32 vcc_lo, v98, v71
	s_cselect_b32 s4, -1, 0
	s_delay_alu instid0(SALU_CYCLE_1) | instskip(NEXT) | instid1(VALU_DEP_2)
	s_and_b32 s3, s4, s3
	v_lshlrev_b32_e32 v5, 2, v5
	ds_bpermute_b32 v6, v5, v36
	ds_bpermute_b32 v7, v5, v37
	;; [unrolled: 1-line block ×4, first 2 shown]
	v_cndmask_b32_e32 v5, v4, v98, vcc_lo
	v_cmp_lt_i32_e32 vcc_lo, v97, v71
	s_delay_alu instid0(VALU_DEP_2)
	v_lshlrev_b32_e32 v5, 2, v5
	s_wait_dscnt 0x2
	v_pk_add_f32 v[6:7], v[36:37], v[6:7]
	s_wait_dscnt 0x0
	v_pk_add_f32 v[8:9], v[34:35], v[8:9]
	ds_bpermute_b32 v10, v5, v6
	ds_bpermute_b32 v11, v5, v7
	ds_bpermute_b32 v12, v5, v8
	ds_bpermute_b32 v13, v5, v9
	v_cndmask_b32_e32 v5, v4, v97, vcc_lo
	v_cmp_lt_i32_e32 vcc_lo, v96, v71
	s_delay_alu instid0(VALU_DEP_2)
	v_lshlrev_b32_e32 v5, 2, v5
	s_wait_dscnt 0x2
	v_pk_add_f32 v[6:7], v[6:7], v[10:11]
	s_wait_dscnt 0x0
	v_pk_add_f32 v[8:9], v[8:9], v[12:13]
	ds_bpermute_b32 v10, v5, v6
	ds_bpermute_b32 v11, v5, v7
	;; [unrolled: 1-line block ×4, first 2 shown]
	v_cndmask_b32_e32 v5, v4, v96, vcc_lo
	v_cmp_lt_i32_e32 vcc_lo, v95, v71
	s_delay_alu instid0(VALU_DEP_2) | instskip(SKIP_2) | instid1(VALU_DEP_1)
	v_dual_cndmask_b32 v4, v4, v95 :: v_dual_lshlrev_b32 v5, 2, v5
	s_and_b32 vcc_lo, exec_lo, s3
	s_mov_b32 s3, 0
	v_lshlrev_b32_e32 v14, 2, v4
	s_wait_dscnt 0x2
	v_pk_add_f32 v[6:7], v[6:7], v[10:11]
	s_wait_dscnt 0x0
	v_pk_add_f32 v[8:9], v[8:9], v[12:13]
	ds_bpermute_b32 v10, v5, v6
	ds_bpermute_b32 v11, v5, v7
	;; [unrolled: 1-line block ×4, first 2 shown]
	s_wait_dscnt 0x2
	v_pk_add_f32 v[4:5], v[6:7], v[10:11]
	s_wait_dscnt 0x0
	v_pk_add_f32 v[8:9], v[8:9], v[12:13]
	ds_bpermute_b32 v6, v14, v4
	ds_bpermute_b32 v7, v14, v5
	;; [unrolled: 1-line block ×4, first 2 shown]
	s_wait_dscnt 0x2
	v_pk_add_f32 v[6:7], v[4:5], v[6:7]
	s_wait_dscnt 0x0
	v_pk_add_f32 v[4:5], v[8:9], v[10:11]
	v_add_nc_u32_e32 v8, s33, v32
	s_cbranch_vccnz .LBB5_87
; %bb.85:
	v_add_nc_u32_e32 v9, s33, v32
	s_and_not1_b32 vcc_lo, exec_lo, s3
	s_cbranch_vccz .LBB5_88
; %bb.86:
	s_delay_alu instid0(VALU_DEP_1)
	v_mov_b32_e32 v8, v9
	s_branch .LBB5_89
.LBB5_87:
                                        ; implicit-def: $vgpr9
.LBB5_88:
	s_delay_alu instid0(VALU_DEP_1) | instskip(SKIP_1) | instid1(VALU_DEP_2)
	v_dual_ashrrev_i32 v9, 31, v8 :: v_dual_max_num_f32 v15, v1, v1
	v_dual_max_num_f32 v16, v2, v2 :: v_dual_max_num_f32 v17, v3, v3
	v_lshl_add_u64 v[10:11], v[8:9], 2, s[12:13]
	v_max_num_f32_e32 v9, v0, v0
	global_load_b128 v[10:13], v[10:11], off
	s_wait_loadcnt 0x0
	v_dual_max_num_f32 v14, v10, v10 :: v_dual_max_num_f32 v18, v11, v11
	v_dual_max_num_f32 v19, v12, v12 :: v_dual_max_num_f32 v20, v13, v13
	s_delay_alu instid0(VALU_DEP_2) | instskip(NEXT) | instid1(VALU_DEP_2)
	v_max_num_f32_e32 v14, v9, v14
	v_dual_max_num_f32 v15, v15, v18 :: v_dual_max_num_f32 v16, v16, v19
	s_delay_alu instid0(VALU_DEP_2) | instskip(NEXT) | instid1(VALU_DEP_2)
	v_dual_max_num_f32 v17, v17, v20 :: v_dual_sub_f32 v0, v0, v14
	v_dual_sub_f32 v9, v10, v14 :: v_dual_sub_f32 v1, v1, v15
	s_delay_alu instid0(VALU_DEP_3) | instskip(NEXT) | instid1(VALU_DEP_3)
	v_dual_sub_f32 v10, v11, v15 :: v_dual_sub_f32 v11, v2, v16
	v_dual_sub_f32 v13, v13, v17 :: v_dual_mul_f32 v2, 0x3fb8aa3b, v0
	v_dual_sub_f32 v12, v12, v16 :: v_dual_sub_f32 v18, v3, v17
	s_delay_alu instid0(VALU_DEP_3) | instskip(NEXT) | instid1(VALU_DEP_3)
	v_dual_mul_f32 v3, 0x3fb8aa3b, v9 :: v_dual_mul_f32 v20, 0x3fb8aa3b, v10
	v_dual_mul_f32 v21, 0x3fb8aa3b, v11 :: v_dual_mul_f32 v24, 0x3fb8aa3b, v13
	s_delay_alu instid0(VALU_DEP_4)
	v_fma_f32 v25, 0x3fb8aa3b, v0, -v2
	v_rndne_f32_e32 v26, v2
	v_dual_mul_f32 v19, 0x3fb8aa3b, v1 :: v_dual_mul_f32 v22, 0x3fb8aa3b, v12
	v_fma_f32 v27, 0x3fb8aa3b, v9, -v3
	v_rndne_f32_e32 v28, v3
	v_fma_f32 v31, 0x3fb8aa3b, v10, -v20
	v_rndne_f32_e32 v32, v20
	v_fma_f32 v40, 0x3fb8aa3b, v13, -v24
	v_dual_fmac_f32 v25, 0x32a5705f, v0 :: v_dual_sub_f32 v2, v2, v26
	s_delay_alu instid0(VALU_DEP_3)
	v_dual_mul_f32 v23, 0x3fb8aa3b, v18 :: v_dual_sub_f32 v20, v20, v32
	v_fma_f32 v29, 0x3fb8aa3b, v1, -v19
	v_rndne_f32_e32 v30, v19
	v_fma_f32 v34, 0x3fb8aa3b, v11, -v21
	v_rndne_f32_e32 v35, v21
	v_rndne_f32_e32 v41, v24
	v_fmac_f32_e32 v27, 0x32a5705f, v9
	v_sub_f32_e32 v3, v3, v28
	v_dual_fmac_f32 v31, 0x32a5705f, v10 :: v_dual_fmac_f32 v40, 0x32a5705f, v13
	v_add_f32_e32 v2, v2, v25
	v_fma_f32 v36, 0x3fb8aa3b, v12, -v22
	v_rndne_f32_e32 v37, v22
	v_fmac_f32_e32 v29, 0x32a5705f, v1
	v_dual_sub_f32 v19, v19, v30 :: v_dual_fmac_f32 v34, 0x32a5705f, v11
	v_dual_sub_f32 v21, v21, v35 :: v_dual_sub_f32 v24, v24, v41
	v_add_f32_e32 v3, v3, v27
	v_add_f32_e32 v20, v20, v31
	v_exp_f32_e32 v2, v2
	v_cvt_i32_f32_e32 v26, v26
	v_fmac_f32_e32 v36, 0x32a5705f, v12
	v_sub_f32_e32 v22, v22, v37
	v_dual_add_f32 v19, v19, v29 :: v_dual_add_f32 v21, v21, v34
	v_exp_f32_e32 v3, v3
	v_cvt_i32_f32_e32 v28, v28
	v_ldexp_f32 v2, v2, v26
	v_cmp_ngt_f32_e32 vcc_lo, 0xc2ce8ed0, v0
	v_exp_f32_e32 v19, v19
	v_exp_f32_e32 v20, v20
	v_cvt_i32_f32_e32 v30, v30
	v_cvt_i32_f32_e32 v32, v32
	v_dual_add_f32 v24, v24, v40 :: v_dual_cndmask_b32 v2, 0, v2, vcc_lo
	v_ldexp_f32 v3, v3, v28
	v_cmp_ngt_f32_e32 vcc_lo, 0xc2ce8ed0, v9
	v_fma_f32 v38, 0x3fb8aa3b, v18, -v23
	v_rndne_f32_e32 v39, v23
	v_exp_f32_e32 v21, v21
	v_cvt_i32_f32_e32 v35, v35
	v_ldexp_f32 v19, v19, v30
	v_ldexp_f32 v20, v20, v32
	v_cndmask_b32_e32 v3, 0, v3, vcc_lo
	v_cmp_ngt_f32_e32 vcc_lo, 0xc2ce8ed0, v1
	v_dual_fmac_f32 v38, 0x32a5705f, v18 :: v_dual_sub_f32 v23, v23, v39
	v_add_f32_e32 v22, v22, v36
	v_ldexp_f32 v21, v21, v35
	v_cndmask_b32_e32 v19, 0, v19, vcc_lo
	v_cmp_ngt_f32_e32 vcc_lo, 0xc2ce8ed0, v10
	v_add_f32_e32 v23, v23, v38
	v_exp_f32_e32 v22, v22
	v_cvt_i32_f32_e32 v37, v37
	v_cvt_i32_f32_e32 v39, v39
	v_cndmask_b32_e32 v20, 0, v20, vcc_lo
	v_cmp_ngt_f32_e32 vcc_lo, 0xc2ce8ed0, v11
	v_exp_f32_e32 v23, v23
	v_exp_f32_e32 v24, v24
	v_ldexp_f32 v22, v22, v37
	v_cvt_i32_f32_e32 v41, v41
	v_cndmask_b32_e32 v21, 0, v21, vcc_lo
	v_cmp_ngt_f32_e32 vcc_lo, 0xc2ce8ed0, v12
	s_delay_alu instid0(TRANS32_DEP_2)
	v_ldexp_f32 v23, v23, v39
	s_delay_alu instid0(TRANS32_DEP_1) | instid1(VALU_DEP_4)
	v_ldexp_f32 v24, v24, v41
	v_cndmask_b32_e32 v22, 0, v22, vcc_lo
	v_cmp_ngt_f32_e32 vcc_lo, 0xc2ce8ed0, v18
	s_delay_alu instid0(VALU_DEP_4)
	v_cndmask_b32_e32 v23, 0, v23, vcc_lo
	v_cmp_ngt_f32_e32 vcc_lo, 0xc2ce8ed0, v13
	v_cndmask_b32_e32 v24, 0, v24, vcc_lo
	v_cmp_nlt_f32_e32 vcc_lo, 0x42b17218, v0
	v_cndmask_b32_e32 v0, 0x7f800000, v2, vcc_lo
	v_cmp_nlt_f32_e32 vcc_lo, 0x42b17218, v9
	s_delay_alu instid0(VALU_DEP_2) | instskip(SKIP_2) | instid1(VALU_DEP_3)
	v_cvt_f16_f32_e32 v9, v0
	v_cndmask_b32_e32 v2, 0x7f800000, v3, vcc_lo
	v_cmp_nlt_f32_e32 vcc_lo, 0x42b17218, v1
	v_and_b32_e32 v9, 0xffff, v9
	v_cndmask_b32_e32 v1, 0x7f800000, v19, vcc_lo
	v_cmp_nlt_f32_e32 vcc_lo, 0x42b17218, v10
	v_cndmask_b32_e32 v3, 0x7f800000, v20, vcc_lo
	v_cmp_nlt_f32_e32 vcc_lo, 0x42b17218, v11
	s_delay_alu instid0(VALU_DEP_2) | instskip(SKIP_3) | instid1(VALU_DEP_3)
	v_pk_fma_f32 v[6:7], v[6:7], v[0:1], v[2:3]
	v_cndmask_b32_e32 v10, 0x7f800000, v21, vcc_lo
	v_cmp_nlt_f32_e32 vcc_lo, 0x42b17218, v12
	v_mul_u32_u24_e32 v3, 0x10001, v9
	v_cvt_f16_f32_e32 v19, v10
	v_cndmask_b32_e32 v12, 0x7f800000, v22, vcc_lo
	v_cmp_nlt_f32_e32 vcc_lo, 0x42b17218, v18
	v_cvt_f16_f32_e32 v18, v1
	v_pk_mul_f16 v91, v91, v3
	v_and_b32_e32 v1, 0xffff, v19
	v_pk_mul_f16 v59, v59, v3
	v_cndmask_b32_e32 v11, 0x7f800000, v23, vcc_lo
	v_and_b32_e32 v0, 0xffff, v18
	v_cmp_nlt_f32_e32 vcc_lo, 0x42b17218, v13
	v_mul_u32_u24_e32 v1, 0x10001, v1
	v_pk_mul_f16 v58, v58, v3
	v_cvt_f16_f32_e32 v20, v11
	v_mul_u32_u24_e32 v0, 0x10001, v0
	v_cndmask_b32_e32 v13, 0x7f800000, v24, vcc_lo
	v_pk_mul_f16 v92, v92, v3
	v_pk_mul_f16 v87, v87, v1
	v_and_b32_e32 v2, 0xffff, v20
	v_pk_mul_f16 v88, v88, v0
	v_pk_mul_f16 v90, v90, v0
	;; [unrolled: 1-line block ×4, first 2 shown]
	v_mul_u32_u24_e32 v2, 0x10001, v2
	v_pk_mul_f16 v63, v63, v1
	v_pk_mul_f16 v62, v62, v1
	;; [unrolled: 1-line block ×3, first 2 shown]
	v_pk_fma_f32 v[4:5], v[4:5], v[10:11], v[12:13]
	v_pk_mul_f16 v86, v86, v2
	v_pk_mul_f16 v85, v85, v2
	;; [unrolled: 1-line block ×4, first 2 shown]
	v_mov_b64_e32 v[0:1], v[14:15]
	v_mov_b64_e32 v[2:3], v[16:17]
.LBB5_89:
	s_load_b32 s0, s[0:1], 0xd4
	v_mov_b32_e32 v10, 1.0
	s_wait_kmcnt 0x0
	s_cmp_lg_u32 s0, 1
	s_cselect_b32 s1, -1, 0
	s_cmp_eq_u32 s0, 1
	s_cselect_b32 s3, -1, 0
	s_and_b32 vcc_lo, exec_lo, s1
	s_cbranch_vccnz .LBB5_91
; %bb.90:
	v_div_scale_f32 v9, null, v6, v6, 1.0
	s_delay_alu instid0(VALU_DEP_1) | instskip(SKIP_1) | instid1(TRANS32_DEP_1)
	v_rcp_f32_e32 v10, v9
	v_nop
	v_fma_f32 v11, -v9, v10, 1.0
	s_delay_alu instid0(VALU_DEP_1) | instskip(SKIP_1) | instid1(VALU_DEP_1)
	v_fmac_f32_e32 v10, v11, v10
	v_div_scale_f32 v11, vcc_lo, 1.0, v6, 1.0
	v_mul_f32_e32 v12, v11, v10
	s_delay_alu instid0(VALU_DEP_1) | instskip(NEXT) | instid1(VALU_DEP_1)
	v_fma_f32 v13, -v9, v12, v11
	v_fmac_f32_e32 v12, v13, v10
	s_delay_alu instid0(VALU_DEP_1) | instskip(NEXT) | instid1(VALU_DEP_1)
	v_fma_f32 v9, -v9, v12, v11
	v_div_fmas_f32 v9, v9, v10, v12
	s_delay_alu instid0(VALU_DEP_1)
	v_div_fixup_f32 v10, v9, v6, 1.0
.LBB5_91:
	v_mad_u32 v9, s2, s22, v66
	v_dual_mov_b32 v19, 0 :: v_dual_lshrrev_b32 v11, 16, v59
	v_dual_lshrrev_b32 v17, 16, v58 :: v_dual_lshrrev_b32 v21, 16, v92
	v_cvt_f32_f16_e32 v12, v91
	v_cvt_f32_f16_e32 v14, v59
	s_delay_alu instid0(VALU_DEP_4)
	v_cvt_f32_f16_e32 v15, v11
	v_cvt_f32_f16_e32 v16, v58
	;; [unrolled: 1-line block ×4, first 2 shown]
	v_mad_u32 v8, v9, s23, v8
	v_cvt_f32_f16_e32 v21, v21
	v_cmp_eq_u32_e32 vcc_lo, 0, v33
	v_pk_mul_f32 v[14:15], v[10:11], v[14:15] op_sel_hi:[0,1]
	v_pk_mul_f32 v[16:17], v[10:11], v[16:17] op_sel_hi:[0,1]
	s_and_b32 s1, vcc_lo, s1
	v_mad_u32 v9, s0, v8, s29
	v_lshrrev_b32_e32 v8, 16, v91
	s_delay_alu instid0(VALU_DEP_1) | instskip(NEXT) | instid1(VALU_DEP_1)
	v_cvt_f32_f16_e32 v13, v8
	v_pk_mul_f32 v[12:13], v[10:11], v[12:13] op_sel_hi:[0,1]
	s_delay_alu instid0(VALU_DEP_4) | instskip(NEXT) | instid1(VALU_DEP_1)
	v_lshl_add_u32 v18, v9, 8, v67
	v_lshl_add_u64 v[22:23], v[18:19], 2, s[16:17]
	v_add_nc_u32_e32 v18, 0x80, v18
	s_delay_alu instid0(VALU_DEP_1)
	v_lshl_add_u64 v[24:25], v[18:19], 2, s[16:17]
	v_pk_mul_f32 v[18:19], v[10:11], v[20:21] op_sel_hi:[0,1]
	s_clause 0x1
	global_store_b128 v[22:23], v[12:15], off
	global_store_b128 v[24:25], v[16:19], off
	s_wait_xcnt 0x0
	s_and_saveexec_b32 s2, s1
	s_cbranch_execz .LBB5_93
; %bb.92:
	v_dual_mov_b32 v10, v0 :: v_dual_mov_b32 v11, v6
	global_store_b64 v9, v[10:11], s[18:19] scale_offset
.LBB5_93:
	s_wait_xcnt 0x0
	s_or_b32 exec_lo, exec_lo, s2
	v_cndmask_b32_e64 v8, 0, 1, s3
	v_mov_b32_e32 v0, 1.0
	s_and_not1_b32 vcc_lo, exec_lo, s3
	s_cbranch_vccnz .LBB5_95
; %bb.94:
	v_div_scale_f32 v0, null, v7, v7, 1.0
	s_delay_alu instid0(VALU_DEP_1) | instskip(SKIP_1) | instid1(TRANS32_DEP_1)
	v_rcp_f32_e32 v6, v0
	v_nop
	v_fma_f32 v10, -v0, v6, 1.0
	s_delay_alu instid0(VALU_DEP_1) | instskip(SKIP_1) | instid1(VALU_DEP_1)
	v_fmac_f32_e32 v6, v10, v6
	v_div_scale_f32 v10, vcc_lo, 1.0, v7, 1.0
	v_mul_f32_e32 v11, v10, v6
	s_delay_alu instid0(VALU_DEP_1) | instskip(NEXT) | instid1(VALU_DEP_1)
	v_fma_f32 v12, -v0, v11, v10
	v_fmac_f32_e32 v11, v12, v6
	s_delay_alu instid0(VALU_DEP_1) | instskip(NEXT) | instid1(VALU_DEP_1)
	v_fma_f32 v0, -v0, v11, v10
	v_div_fmas_f32 v0, v0, v6, v11
	s_delay_alu instid0(VALU_DEP_1)
	v_div_fixup_f32 v0, v0, v7, 1.0
.LBB5_95:
	v_dual_add_nc_u32 v9, s0, v9 :: v_dual_mov_b32 v15, 0
	v_dual_lshrrev_b32 v6, 16, v88 :: v_dual_lshrrev_b32 v12, 16, v90
	v_lshrrev_b32_e32 v16, 16, v65
	s_delay_alu instid0(VALU_DEP_3)
	v_lshl_add_u32 v14, v9, 8, v67
	v_lshrrev_b32_e32 v20, 16, v89
	v_cvt_f32_f16_e32 v10, v88
	v_cvt_f32_f16_e32 v11, v6
	;; [unrolled: 1-line block ×4, first 2 shown]
	v_lshl_add_u64 v[18:19], v[14:15], 2, s[16:17]
	v_add_nc_u32_e32 v14, 0x80, v14
	v_cvt_f32_f16_e32 v17, v16
	v_cvt_f32_f16_e32 v16, v65
	;; [unrolled: 1-line block ×4, first 2 shown]
	v_pk_mul_f32 v[10:11], v[0:1], v[10:11] op_sel_hi:[0,1]
	v_pk_mul_f32 v[12:13], v[0:1], v[12:13] op_sel_hi:[0,1]
	v_lshl_add_u64 v[22:23], v[14:15], 2, s[16:17]
	v_pk_mul_f32 v[14:15], v[0:1], v[16:17] op_sel_hi:[0,1]
	v_pk_mul_f32 v[16:17], v[0:1], v[20:21] op_sel_hi:[0,1]
	s_clause 0x1
	global_store_b128 v[18:19], v[10:13], off
	global_store_b128 v[22:23], v[14:17], off
	s_wait_xcnt 0x0
	s_and_saveexec_b32 s2, s1
	s_cbranch_execz .LBB5_97
; %bb.96:
	v_mov_b32_e32 v6, v1
	global_store_b64 v9, v[6:7], s[18:19] scale_offset
.LBB5_97:
	s_wait_xcnt 0x0
	s_or_b32 exec_lo, exec_lo, s2
	v_cmp_ne_u32_e32 vcc_lo, 1, v8
	v_mov_b32_e32 v0, 1.0
	s_cbranch_vccnz .LBB5_99
; %bb.98:
	v_div_scale_f32 v0, null, v4, v4, 1.0
	s_delay_alu instid0(VALU_DEP_1) | instskip(SKIP_1) | instid1(TRANS32_DEP_1)
	v_rcp_f32_e32 v1, v0
	v_nop
	v_fma_f32 v6, -v0, v1, 1.0
	s_delay_alu instid0(VALU_DEP_1) | instskip(SKIP_1) | instid1(VALU_DEP_1)
	v_fmac_f32_e32 v1, v6, v1
	v_div_scale_f32 v6, vcc_lo, 1.0, v4, 1.0
	v_mul_f32_e32 v7, v6, v1
	s_delay_alu instid0(VALU_DEP_1) | instskip(NEXT) | instid1(VALU_DEP_1)
	v_fma_f32 v10, -v0, v7, v6
	v_fmac_f32_e32 v7, v10, v1
	s_delay_alu instid0(VALU_DEP_1) | instskip(NEXT) | instid1(VALU_DEP_1)
	v_fma_f32 v0, -v0, v7, v6
	v_div_fmas_f32 v0, v0, v1, v7
	s_delay_alu instid0(VALU_DEP_1)
	v_div_fixup_f32 v0, v0, v4, 1.0
.LBB5_99:
	v_dual_add_nc_u32 v1, s0, v9 :: v_dual_mov_b32 v7, 0
	v_dual_lshrrev_b32 v9, 16, v87 :: v_dual_lshrrev_b32 v14, 16, v62
	v_dual_lshrrev_b32 v12, 16, v63 :: v_dual_lshrrev_b32 v16, 16, v64
	s_delay_alu instid0(VALU_DEP_3) | instskip(SKIP_1) | instid1(VALU_DEP_4)
	v_lshl_add_u32 v6, v1, 8, v67
	v_cvt_f32_f16_e32 v10, v87
	v_cvt_f32_f16_e32 v11, v9
	s_delay_alu instid0(VALU_DEP_4)
	v_cvt_f32_f16_e32 v13, v12
	v_cvt_f32_f16_e32 v12, v63
	v_lshl_add_u64 v[18:19], v[6:7], 2, s[16:17]
	v_add_nc_u32_e32 v6, 0x80, v6
	v_cvt_f32_f16_e32 v15, v14
	v_cvt_f32_f16_e32 v14, v62
	;; [unrolled: 1-line block ×4, first 2 shown]
	v_pk_mul_f32 v[10:11], v[0:1], v[10:11] op_sel_hi:[0,1]
	v_pk_mul_f32 v[12:13], v[0:1], v[12:13] op_sel_hi:[0,1]
	v_lshl_add_u64 v[6:7], v[6:7], 2, s[16:17]
	v_pk_mul_f32 v[14:15], v[0:1], v[14:15] op_sel_hi:[0,1]
	v_pk_mul_f32 v[16:17], v[0:1], v[16:17] op_sel_hi:[0,1]
	s_clause 0x1
	global_store_b128 v[18:19], v[10:13], off
	global_store_b128 v[6:7], v[14:17], off
	s_wait_xcnt 0x0
	s_and_saveexec_b32 s2, s1
	s_cbranch_execz .LBB5_101
; %bb.100:
	v_dual_mov_b32 v6, v2 :: v_dual_mov_b32 v7, v4
	global_store_b64 v1, v[6:7], s[18:19] scale_offset
.LBB5_101:
	s_wait_xcnt 0x0
	s_or_b32 exec_lo, exec_lo, s2
	v_cmp_ne_u32_e32 vcc_lo, 1, v8
	v_mov_b32_e32 v0, 1.0
	s_cbranch_vccnz .LBB5_103
; %bb.102:
	v_div_scale_f32 v0, null, v5, v5, 1.0
	s_delay_alu instid0(VALU_DEP_1) | instskip(SKIP_1) | instid1(TRANS32_DEP_1)
	v_rcp_f32_e32 v2, v0
	v_nop
	v_fma_f32 v4, -v0, v2, 1.0
	s_delay_alu instid0(VALU_DEP_1) | instskip(SKIP_1) | instid1(VALU_DEP_1)
	v_fmac_f32_e32 v2, v4, v2
	v_div_scale_f32 v4, vcc_lo, 1.0, v5, 1.0
	v_mul_f32_e32 v6, v4, v2
	s_delay_alu instid0(VALU_DEP_1) | instskip(NEXT) | instid1(VALU_DEP_1)
	v_fma_f32 v7, -v0, v6, v4
	v_fmac_f32_e32 v6, v7, v2
	s_delay_alu instid0(VALU_DEP_1) | instskip(NEXT) | instid1(VALU_DEP_1)
	v_fma_f32 v0, -v0, v6, v4
	v_div_fmas_f32 v0, v0, v2, v6
	s_delay_alu instid0(VALU_DEP_1)
	v_div_fixup_f32 v0, v0, v5, 1.0
.LBB5_103:
	v_dual_add_nc_u32 v1, s0, v1 :: v_dual_mov_b32 v11, 0
	v_dual_lshrrev_b32 v2, 16, v86 :: v_dual_lshrrev_b32 v4, 16, v85
	v_dual_lshrrev_b32 v12, 16, v84 :: v_dual_lshrrev_b32 v16, 16, v83
	s_delay_alu instid0(VALU_DEP_3) | instskip(SKIP_1) | instid1(VALU_DEP_4)
	v_lshl_add_u32 v10, v1, 8, v67
	v_cvt_f32_f16_e32 v6, v86
	v_cvt_f32_f16_e32 v7, v2
	;; [unrolled: 1-line block ×4, first 2 shown]
	v_lshl_add_u64 v[14:15], v[10:11], 2, s[16:17]
	v_add_nc_u32_e32 v10, 0x80, v10
	v_cvt_f32_f16_e32 v13, v12
	v_cvt_f32_f16_e32 v12, v84
	;; [unrolled: 1-line block ×4, first 2 shown]
	v_pk_mul_f32 v[6:7], v[0:1], v[6:7] op_sel_hi:[0,1]
	v_pk_mul_f32 v[8:9], v[0:1], v[8:9] op_sel_hi:[0,1]
	v_lshl_add_u64 v[18:19], v[10:11], 2, s[16:17]
	v_pk_mul_f32 v[10:11], v[0:1], v[12:13] op_sel_hi:[0,1]
	v_pk_mul_f32 v[12:13], v[0:1], v[16:17] op_sel_hi:[0,1]
	s_clause 0x1
	global_store_b128 v[14:15], v[6:9], off
	global_store_b128 v[18:19], v[10:13], off
	s_wait_xcnt 0x0
	s_and_saveexec_b32 s0, s1
	s_cbranch_execz .LBB5_105
; %bb.104:
	v_mov_b32_e32 v4, v3
	global_store_b64 v1, v[4:5], s[18:19] scale_offset
.LBB5_105:
	s_sendmsg sendmsg(MSG_DEALLOC_VGPRS)
	s_endpgm
	.section	.rodata,"a",@progbits
	.p2align	6, 0x0
	.amdhsa_kernel _ZL15flash_attn_tileILi320ELi256ELi1ELi32ELb1EEvPKcS1_S1_S1_S1_PKiPfP15HIP_vector_typeIfLj2EEffffjfiS5_IjLj3EEiiiiiiiiiiiliiliiiiil
		.amdhsa_group_segment_fixed_size 47104
		.amdhsa_private_segment_fixed_size 0
		.amdhsa_kernarg_size 464
		.amdhsa_user_sgpr_count 2
		.amdhsa_user_sgpr_dispatch_ptr 0
		.amdhsa_user_sgpr_queue_ptr 0
		.amdhsa_user_sgpr_kernarg_segment_ptr 1
		.amdhsa_user_sgpr_dispatch_id 0
		.amdhsa_user_sgpr_kernarg_preload_length 0
		.amdhsa_user_sgpr_kernarg_preload_offset 0
		.amdhsa_user_sgpr_private_segment_size 0
		.amdhsa_wavefront_size32 1
		.amdhsa_uses_dynamic_stack 0
		.amdhsa_enable_private_segment 0
		.amdhsa_system_sgpr_workgroup_id_x 1
		.amdhsa_system_sgpr_workgroup_id_y 1
		.amdhsa_system_sgpr_workgroup_id_z 1
		.amdhsa_system_sgpr_workgroup_info 0
		.amdhsa_system_vgpr_workitem_id 1
		.amdhsa_next_free_vgpr 204
		.amdhsa_next_free_sgpr 43
		.amdhsa_named_barrier_count 0
		.amdhsa_reserve_vcc 1
		.amdhsa_float_round_mode_32 0
		.amdhsa_float_round_mode_16_64 0
		.amdhsa_float_denorm_mode_32 3
		.amdhsa_float_denorm_mode_16_64 3
		.amdhsa_fp16_overflow 0
		.amdhsa_memory_ordered 1
		.amdhsa_forward_progress 1
		.amdhsa_inst_pref_size 255
		.amdhsa_round_robin_scheduling 0
		.amdhsa_exception_fp_ieee_invalid_op 0
		.amdhsa_exception_fp_denorm_src 0
		.amdhsa_exception_fp_ieee_div_zero 0
		.amdhsa_exception_fp_ieee_overflow 0
		.amdhsa_exception_fp_ieee_underflow 0
		.amdhsa_exception_fp_ieee_inexact 0
		.amdhsa_exception_int_div_zero 0
	.end_amdhsa_kernel
	.section	.text._ZL15flash_attn_tileILi320ELi256ELi1ELi32ELb1EEvPKcS1_S1_S1_S1_PKiPfP15HIP_vector_typeIfLj2EEffffjfiS5_IjLj3EEiiiiiiiiiiiliiliiiiil,"axG",@progbits,_ZL15flash_attn_tileILi320ELi256ELi1ELi32ELb1EEvPKcS1_S1_S1_S1_PKiPfP15HIP_vector_typeIfLj2EEffffjfiS5_IjLj3EEiiiiiiiiiiiliiliiiiil,comdat
.Lfunc_end5:
	.size	_ZL15flash_attn_tileILi320ELi256ELi1ELi32ELb1EEvPKcS1_S1_S1_S1_PKiPfP15HIP_vector_typeIfLj2EEffffjfiS5_IjLj3EEiiiiiiiiiiiliiliiiiil, .Lfunc_end5-_ZL15flash_attn_tileILi320ELi256ELi1ELi32ELb1EEvPKcS1_S1_S1_S1_PKiPfP15HIP_vector_typeIfLj2EEffffjfiS5_IjLj3EEiiiiiiiiiiiliiliiiiil
                                        ; -- End function
	.set _ZL15flash_attn_tileILi320ELi256ELi1ELi32ELb1EEvPKcS1_S1_S1_S1_PKiPfP15HIP_vector_typeIfLj2EEffffjfiS5_IjLj3EEiiiiiiiiiiiliiliiiiil.num_vgpr, 204
	.set _ZL15flash_attn_tileILi320ELi256ELi1ELi32ELb1EEvPKcS1_S1_S1_S1_PKiPfP15HIP_vector_typeIfLj2EEffffjfiS5_IjLj3EEiiiiiiiiiiiliiliiiiil.num_agpr, 0
	.set _ZL15flash_attn_tileILi320ELi256ELi1ELi32ELb1EEvPKcS1_S1_S1_S1_PKiPfP15HIP_vector_typeIfLj2EEffffjfiS5_IjLj3EEiiiiiiiiiiiliiliiiiil.numbered_sgpr, 43
	.set _ZL15flash_attn_tileILi320ELi256ELi1ELi32ELb1EEvPKcS1_S1_S1_S1_PKiPfP15HIP_vector_typeIfLj2EEffffjfiS5_IjLj3EEiiiiiiiiiiiliiliiiiil.num_named_barrier, 0
	.set _ZL15flash_attn_tileILi320ELi256ELi1ELi32ELb1EEvPKcS1_S1_S1_S1_PKiPfP15HIP_vector_typeIfLj2EEffffjfiS5_IjLj3EEiiiiiiiiiiiliiliiiiil.private_seg_size, 0
	.set _ZL15flash_attn_tileILi320ELi256ELi1ELi32ELb1EEvPKcS1_S1_S1_S1_PKiPfP15HIP_vector_typeIfLj2EEffffjfiS5_IjLj3EEiiiiiiiiiiiliiliiiiil.uses_vcc, 1
	.set _ZL15flash_attn_tileILi320ELi256ELi1ELi32ELb1EEvPKcS1_S1_S1_S1_PKiPfP15HIP_vector_typeIfLj2EEffffjfiS5_IjLj3EEiiiiiiiiiiiliiliiiiil.uses_flat_scratch, 0
	.set _ZL15flash_attn_tileILi320ELi256ELi1ELi32ELb1EEvPKcS1_S1_S1_S1_PKiPfP15HIP_vector_typeIfLj2EEffffjfiS5_IjLj3EEiiiiiiiiiiiliiliiiiil.has_dyn_sized_stack, 0
	.set _ZL15flash_attn_tileILi320ELi256ELi1ELi32ELb1EEvPKcS1_S1_S1_S1_PKiPfP15HIP_vector_typeIfLj2EEffffjfiS5_IjLj3EEiiiiiiiiiiiliiliiiiil.has_recursion, 0
	.set _ZL15flash_attn_tileILi320ELi256ELi1ELi32ELb1EEvPKcS1_S1_S1_S1_PKiPfP15HIP_vector_typeIfLj2EEffffjfiS5_IjLj3EEiiiiiiiiiiiliiliiiiil.has_indirect_call, 0
	.section	.AMDGPU.csdata,"",@progbits
; Kernel info:
; codeLenInByte = 44332
; TotalNumSgprs: 45
; NumVgprs: 204
; ScratchSize: 0
; MemoryBound: 0
; FloatMode: 240
; IeeeMode: 1
; LDSByteSize: 47104 bytes/workgroup (compile time only)
; SGPRBlocks: 0
; VGPRBlocks: 12
; NumSGPRsForWavesPerEU: 45
; NumVGPRsForWavesPerEU: 204
; NamedBarCnt: 0
; Occupancy: 4
; WaveLimiterHint : 1
; COMPUTE_PGM_RSRC2:SCRATCH_EN: 0
; COMPUTE_PGM_RSRC2:USER_SGPR: 2
; COMPUTE_PGM_RSRC2:TRAP_HANDLER: 0
; COMPUTE_PGM_RSRC2:TGID_X_EN: 1
; COMPUTE_PGM_RSRC2:TGID_Y_EN: 1
; COMPUTE_PGM_RSRC2:TGID_Z_EN: 1
; COMPUTE_PGM_RSRC2:TIDIG_COMP_CNT: 1
	.section	.AMDGPU.gpr_maximums,"",@progbits
	.set amdgpu.max_num_vgpr, 0
	.set amdgpu.max_num_agpr, 0
	.set amdgpu.max_num_sgpr, 0
	.section	.AMDGPU.csdata,"",@progbits
	.type	__hip_cuid_a499f5c0a6ac265f,@object ; @__hip_cuid_a499f5c0a6ac265f
	.section	.bss,"aw",@nobits
	.globl	__hip_cuid_a499f5c0a6ac265f
__hip_cuid_a499f5c0a6ac265f:
	.byte	0                               ; 0x0
	.size	__hip_cuid_a499f5c0a6ac265f, 1

	.ident	"AMD clang version 22.0.0git (https://github.com/RadeonOpenCompute/llvm-project roc-7.2.4 26084 f58b06dce1f9c15707c5f808fd002e18c2accf7e)"
	.section	".note.GNU-stack","",@progbits
	.addrsig
	.addrsig_sym __hip_cuid_a499f5c0a6ac265f
	.amdgpu_metadata
---
amdhsa.kernels:
  - .args:
      - .address_space:  global
        .offset:         0
        .size:           8
        .value_kind:     global_buffer
      - .address_space:  global
        .offset:         8
        .size:           8
        .value_kind:     global_buffer
      - .address_space:  global
        .offset:         16
        .size:           8
        .value_kind:     global_buffer
      - .address_space:  global
        .offset:         24
        .size:           8
        .value_kind:     global_buffer
      - .address_space:  global
        .offset:         32
        .size:           8
        .value_kind:     global_buffer
      - .address_space:  global
        .offset:         40
        .size:           8
        .value_kind:     global_buffer
      - .address_space:  global
        .offset:         48
        .size:           8
        .value_kind:     global_buffer
      - .address_space:  global
        .offset:         56
        .size:           8
        .value_kind:     global_buffer
      - .offset:         64
        .size:           4
        .value_kind:     by_value
      - .offset:         68
        .size:           4
        .value_kind:     by_value
      - .offset:         72
        .size:           4
        .value_kind:     by_value
      - .offset:         76
        .size:           4
        .value_kind:     by_value
      - .offset:         80
        .size:           4
        .value_kind:     by_value
      - .offset:         84
        .size:           4
        .value_kind:     by_value
      - .offset:         88
        .size:           4
        .value_kind:     by_value
      - .offset:         92
        .size:           12
        .value_kind:     by_value
      - .offset:         104
        .size:           4
        .value_kind:     by_value
      - .offset:         108
        .size:           4
        .value_kind:     by_value
      - .offset:         112
        .size:           4
        .value_kind:     by_value
      - .offset:         116
        .size:           4
        .value_kind:     by_value
      - .offset:         120
        .size:           4
        .value_kind:     by_value
      - .offset:         124
        .size:           4
        .value_kind:     by_value
      - .offset:         128
        .size:           4
        .value_kind:     by_value
      - .offset:         132
        .size:           4
        .value_kind:     by_value
      - .offset:         136
        .size:           4
        .value_kind:     by_value
      - .offset:         140
        .size:           4
        .value_kind:     by_value
      - .offset:         144
        .size:           4
        .value_kind:     by_value
      - .offset:         152
        .size:           8
        .value_kind:     by_value
      - .offset:         160
        .size:           4
        .value_kind:     by_value
      - .offset:         164
        .size:           4
        .value_kind:     by_value
      - .offset:         168
        .size:           8
        .value_kind:     by_value
      - .offset:         176
        .size:           4
        .value_kind:     by_value
      - .offset:         180
        .size:           4
        .value_kind:     by_value
      - .offset:         184
        .size:           4
        .value_kind:     by_value
      - .offset:         188
        .size:           4
        .value_kind:     by_value
      - .offset:         192
        .size:           4
        .value_kind:     by_value
      - .offset:         200
        .size:           8
        .value_kind:     by_value
      - .offset:         208
        .size:           4
        .value_kind:     hidden_block_count_x
      - .offset:         212
        .size:           4
        .value_kind:     hidden_block_count_y
      - .offset:         216
        .size:           4
        .value_kind:     hidden_block_count_z
      - .offset:         220
        .size:           2
        .value_kind:     hidden_group_size_x
      - .offset:         222
        .size:           2
        .value_kind:     hidden_group_size_y
      - .offset:         224
        .size:           2
        .value_kind:     hidden_group_size_z
      - .offset:         226
        .size:           2
        .value_kind:     hidden_remainder_x
      - .offset:         228
        .size:           2
        .value_kind:     hidden_remainder_y
      - .offset:         230
        .size:           2
        .value_kind:     hidden_remainder_z
      - .offset:         248
        .size:           8
        .value_kind:     hidden_global_offset_x
      - .offset:         256
        .size:           8
        .value_kind:     hidden_global_offset_y
      - .offset:         264
        .size:           8
        .value_kind:     hidden_global_offset_z
      - .offset:         272
        .size:           2
        .value_kind:     hidden_grid_dims
    .group_segment_fixed_size: 47104
    .kernarg_segment_align: 8
    .kernarg_segment_size: 464
    .language:       OpenCL C
    .language_version:
      - 2
      - 0
    .max_flat_workgroup_size: 256
    .name:           _ZL15flash_attn_tileILi320ELi256ELi1ELi32ELb0EEvPKcS1_S1_S1_S1_PKiPfP15HIP_vector_typeIfLj2EEffffjfiS5_IjLj3EEiiiiiiiiiiiliiliiiiil
    .private_segment_fixed_size: 0
    .sgpr_count:     52
    .sgpr_spill_count: 0
    .symbol:         _ZL15flash_attn_tileILi320ELi256ELi1ELi32ELb0EEvPKcS1_S1_S1_S1_PKiPfP15HIP_vector_typeIfLj2EEffffjfiS5_IjLj3EEiiiiiiiiiiiliiliiiiil.kd
    .uniform_work_group_size: 1
    .uses_dynamic_stack: false
    .vgpr_count:     163
    .vgpr_spill_count: 0
    .wavefront_size: 32
  - .args:
      - .actual_access:  read_only
        .address_space:  global
        .offset:         0
        .size:           8
        .value_kind:     global_buffer
      - .actual_access:  write_only
        .address_space:  global
        .offset:         8
        .size:           8
        .value_kind:     global_buffer
      - .offset:         16
        .size:           4
        .value_kind:     by_value
      - .offset:         20
        .size:           4
        .value_kind:     by_value
      - .offset:         24
        .size:           4
        .value_kind:     by_value
      - .offset:         32
        .size:           4
        .value_kind:     hidden_block_count_x
      - .offset:         36
        .size:           4
        .value_kind:     hidden_block_count_y
      - .offset:         40
        .size:           4
        .value_kind:     hidden_block_count_z
      - .offset:         44
        .size:           2
        .value_kind:     hidden_group_size_x
      - .offset:         46
        .size:           2
        .value_kind:     hidden_group_size_y
      - .offset:         48
        .size:           2
        .value_kind:     hidden_group_size_z
      - .offset:         50
        .size:           2
        .value_kind:     hidden_remainder_x
      - .offset:         52
        .size:           2
        .value_kind:     hidden_remainder_y
      - .offset:         54
        .size:           2
        .value_kind:     hidden_remainder_z
      - .offset:         72
        .size:           8
        .value_kind:     hidden_global_offset_x
      - .offset:         80
        .size:           8
        .value_kind:     hidden_global_offset_y
      - .offset:         88
        .size:           8
        .value_kind:     hidden_global_offset_z
      - .offset:         96
        .size:           2
        .value_kind:     hidden_grid_dims
    .group_segment_fixed_size: 128
    .kernarg_segment_align: 8
    .kernarg_segment_size: 288
    .language:       OpenCL C
    .language_version:
      - 2
      - 0
    .max_flat_workgroup_size: 128
    .name:           _ZL25flash_attn_mask_to_KV_maxILi1EEvPK7__half2Piiii
    .private_segment_fixed_size: 0
    .sgpr_count:     15
    .sgpr_spill_count: 0
    .symbol:         _ZL25flash_attn_mask_to_KV_maxILi1EEvPK7__half2Piiii.kd
    .uniform_work_group_size: 1
    .uses_dynamic_stack: false
    .vgpr_count:     5
    .vgpr_spill_count: 0
    .wavefront_size: 32
  - .args:
      - .address_space:  global
        .offset:         0
        .size:           8
        .value_kind:     global_buffer
      - .address_space:  global
        .offset:         8
        .size:           8
        .value_kind:     global_buffer
      - .offset:         16
        .size:           4
        .value_kind:     by_value
      - .offset:         20
        .size:           4
        .value_kind:     by_value
      - .offset:         24
        .size:           4
        .value_kind:     by_value
      - .offset:         28
        .size:           4
        .value_kind:     by_value
      - .offset:         32
        .size:           4
        .value_kind:     by_value
      - .offset:         36
        .size:           4
        .value_kind:     by_value
      - .offset:         40
        .size:           12
        .value_kind:     by_value
      - .offset:         52
        .size:           12
        .value_kind:     by_value
      - .offset:         64
        .size:           12
        .value_kind:     by_value
    .group_segment_fixed_size: 0
    .kernarg_segment_align: 8
    .kernarg_segment_size: 76
    .language:       OpenCL C
    .language_version:
      - 2
      - 0
    .max_flat_workgroup_size: 256
    .name:           _ZL33flash_attn_stream_k_fixup_uniformILi256ELi1ELi32EEvPfPK15HIP_vector_typeIfLj2EEiiiiiiS1_IjLj3EES5_S5_
    .private_segment_fixed_size: 0
    .sgpr_count:     23
    .sgpr_spill_count: 0
    .symbol:         _ZL33flash_attn_stream_k_fixup_uniformILi256ELi1ELi32EEvPfPK15HIP_vector_typeIfLj2EEiiiiiiS1_IjLj3EES5_S5_.kd
    .uniform_work_group_size: 1
    .uses_dynamic_stack: false
    .vgpr_count:     12
    .vgpr_spill_count: 0
    .wavefront_size: 32
  - .args:
      - .address_space:  global
        .offset:         0
        .size:           8
        .value_kind:     global_buffer
      - .address_space:  global
        .offset:         8
        .size:           8
        .value_kind:     global_buffer
      - .offset:         16
        .size:           4
        .value_kind:     by_value
      - .offset:         20
        .size:           4
        .value_kind:     by_value
      - .offset:         24
        .size:           4
        .value_kind:     by_value
      - .offset:         28
        .size:           4
        .value_kind:     by_value
      - .offset:         32
        .size:           12
        .value_kind:     by_value
      - .offset:         44
        .size:           12
        .value_kind:     by_value
      - .offset:         56
        .size:           12
        .value_kind:     by_value
      - .offset:         68
        .size:           12
        .value_kind:     by_value
      - .offset:         80
        .size:           4
        .value_kind:     hidden_block_count_x
      - .offset:         84
        .size:           4
        .value_kind:     hidden_block_count_y
      - .offset:         88
        .size:           4
        .value_kind:     hidden_block_count_z
      - .offset:         92
        .size:           2
        .value_kind:     hidden_group_size_x
      - .offset:         94
        .size:           2
        .value_kind:     hidden_group_size_y
      - .offset:         96
        .size:           2
        .value_kind:     hidden_group_size_z
      - .offset:         98
        .size:           2
        .value_kind:     hidden_remainder_x
      - .offset:         100
        .size:           2
        .value_kind:     hidden_remainder_y
      - .offset:         102
        .size:           2
        .value_kind:     hidden_remainder_z
      - .offset:         120
        .size:           8
        .value_kind:     hidden_global_offset_x
      - .offset:         128
        .size:           8
        .value_kind:     hidden_global_offset_y
      - .offset:         136
        .size:           8
        .value_kind:     hidden_global_offset_z
      - .offset:         144
        .size:           2
        .value_kind:     hidden_grid_dims
    .group_segment_fixed_size: 0
    .kernarg_segment_align: 8
    .kernarg_segment_size: 336
    .language:       OpenCL C
    .language_version:
      - 2
      - 0
    .max_flat_workgroup_size: 256
    .name:           _ZL33flash_attn_stream_k_fixup_generalILi256ELi1ELi32EEvPfPK15HIP_vector_typeIfLj2EEiiiiS1_IjLj3EES5_S5_S5_
    .private_segment_fixed_size: 0
    .sgpr_count:     48
    .sgpr_spill_count: 0
    .symbol:         _ZL33flash_attn_stream_k_fixup_generalILi256ELi1ELi32EEvPfPK15HIP_vector_typeIfLj2EEiiiiS1_IjLj3EES5_S5_S5_.kd
    .uniform_work_group_size: 1
    .uses_dynamic_stack: false
    .vgpr_count:     12
    .vgpr_spill_count: 0
    .wavefront_size: 32
  - .args:
      - .address_space:  global
        .offset:         0
        .size:           8
        .value_kind:     global_buffer
      - .address_space:  global
        .offset:         8
        .size:           8
        .value_kind:     global_buffer
      - .address_space:  global
        .offset:         16
        .size:           8
        .value_kind:     global_buffer
      - .offset:         24
        .size:           4
        .value_kind:     by_value
      - .offset:         32
        .size:           4
        .value_kind:     hidden_block_count_x
      - .offset:         36
        .size:           4
        .value_kind:     hidden_block_count_y
      - .offset:         40
        .size:           4
        .value_kind:     hidden_block_count_z
      - .offset:         44
        .size:           2
        .value_kind:     hidden_group_size_x
      - .offset:         46
        .size:           2
        .value_kind:     hidden_group_size_y
      - .offset:         48
        .size:           2
        .value_kind:     hidden_group_size_z
      - .offset:         50
        .size:           2
        .value_kind:     hidden_remainder_x
      - .offset:         52
        .size:           2
        .value_kind:     hidden_remainder_y
      - .offset:         54
        .size:           2
        .value_kind:     hidden_remainder_z
      - .offset:         72
        .size:           8
        .value_kind:     hidden_global_offset_x
      - .offset:         80
        .size:           8
        .value_kind:     hidden_global_offset_y
      - .offset:         88
        .size:           8
        .value_kind:     hidden_global_offset_z
      - .offset:         96
        .size:           2
        .value_kind:     hidden_grid_dims
      - .offset:         152
        .size:           4
        .value_kind:     hidden_dynamic_lds_size
    .group_segment_fixed_size: 0
    .kernarg_segment_align: 8
    .kernarg_segment_size: 288
    .language:       OpenCL C
    .language_version:
      - 2
      - 0
    .max_flat_workgroup_size: 256
    .name:           _ZL26flash_attn_combine_resultsILi256EEvPKfPK15HIP_vector_typeIfLj2EEPfi
    .private_segment_fixed_size: 0
    .sgpr_count:     45
    .sgpr_spill_count: 0
    .symbol:         _ZL26flash_attn_combine_resultsILi256EEvPKfPK15HIP_vector_typeIfLj2EEPfi.kd
    .uniform_work_group_size: 1
    .uses_dynamic_stack: false
    .vgpr_count:     36
    .vgpr_spill_count: 0
    .wavefront_size: 32
  - .args:
      - .address_space:  global
        .offset:         0
        .size:           8
        .value_kind:     global_buffer
      - .address_space:  global
        .offset:         8
        .size:           8
        .value_kind:     global_buffer
      - .address_space:  global
        .offset:         16
        .size:           8
        .value_kind:     global_buffer
      - .address_space:  global
        .offset:         24
        .size:           8
        .value_kind:     global_buffer
      - .address_space:  global
        .offset:         32
        .size:           8
        .value_kind:     global_buffer
      - .address_space:  global
        .offset:         40
        .size:           8
        .value_kind:     global_buffer
      - .address_space:  global
        .offset:         48
        .size:           8
        .value_kind:     global_buffer
      - .address_space:  global
        .offset:         56
        .size:           8
        .value_kind:     global_buffer
      - .offset:         64
        .size:           4
        .value_kind:     by_value
      - .offset:         68
        .size:           4
        .value_kind:     by_value
      - .offset:         72
        .size:           4
        .value_kind:     by_value
      - .offset:         76
        .size:           4
        .value_kind:     by_value
      - .offset:         80
        .size:           4
        .value_kind:     by_value
      - .offset:         84
        .size:           4
        .value_kind:     by_value
      - .offset:         88
        .size:           4
        .value_kind:     by_value
      - .offset:         92
        .size:           12
        .value_kind:     by_value
      - .offset:         104
        .size:           4
        .value_kind:     by_value
      - .offset:         108
        .size:           4
        .value_kind:     by_value
      - .offset:         112
        .size:           4
        .value_kind:     by_value
      - .offset:         116
        .size:           4
        .value_kind:     by_value
      - .offset:         120
        .size:           4
        .value_kind:     by_value
      - .offset:         124
        .size:           4
        .value_kind:     by_value
      - .offset:         128
        .size:           4
        .value_kind:     by_value
      - .offset:         132
        .size:           4
        .value_kind:     by_value
      - .offset:         136
        .size:           4
        .value_kind:     by_value
      - .offset:         140
        .size:           4
        .value_kind:     by_value
      - .offset:         144
        .size:           4
        .value_kind:     by_value
      - .offset:         152
        .size:           8
        .value_kind:     by_value
      - .offset:         160
        .size:           4
        .value_kind:     by_value
      - .offset:         164
        .size:           4
        .value_kind:     by_value
      - .offset:         168
        .size:           8
        .value_kind:     by_value
      - .offset:         176
        .size:           4
        .value_kind:     by_value
      - .offset:         180
        .size:           4
        .value_kind:     by_value
      - .offset:         184
        .size:           4
        .value_kind:     by_value
      - .offset:         188
        .size:           4
        .value_kind:     by_value
      - .offset:         192
        .size:           4
        .value_kind:     by_value
      - .offset:         200
        .size:           8
        .value_kind:     by_value
      - .offset:         208
        .size:           4
        .value_kind:     hidden_block_count_x
      - .offset:         212
        .size:           4
        .value_kind:     hidden_block_count_y
      - .offset:         216
        .size:           4
        .value_kind:     hidden_block_count_z
      - .offset:         220
        .size:           2
        .value_kind:     hidden_group_size_x
      - .offset:         222
        .size:           2
        .value_kind:     hidden_group_size_y
      - .offset:         224
        .size:           2
        .value_kind:     hidden_group_size_z
      - .offset:         226
        .size:           2
        .value_kind:     hidden_remainder_x
      - .offset:         228
        .size:           2
        .value_kind:     hidden_remainder_y
      - .offset:         230
        .size:           2
        .value_kind:     hidden_remainder_z
      - .offset:         248
        .size:           8
        .value_kind:     hidden_global_offset_x
      - .offset:         256
        .size:           8
        .value_kind:     hidden_global_offset_y
      - .offset:         264
        .size:           8
        .value_kind:     hidden_global_offset_z
      - .offset:         272
        .size:           2
        .value_kind:     hidden_grid_dims
    .group_segment_fixed_size: 47104
    .kernarg_segment_align: 8
    .kernarg_segment_size: 464
    .language:       OpenCL C
    .language_version:
      - 2
      - 0
    .max_flat_workgroup_size: 256
    .name:           _ZL15flash_attn_tileILi320ELi256ELi1ELi32ELb1EEvPKcS1_S1_S1_S1_PKiPfP15HIP_vector_typeIfLj2EEffffjfiS5_IjLj3EEiiiiiiiiiiiliiliiiiil
    .private_segment_fixed_size: 0
    .sgpr_count:     45
    .sgpr_spill_count: 0
    .symbol:         _ZL15flash_attn_tileILi320ELi256ELi1ELi32ELb1EEvPKcS1_S1_S1_S1_PKiPfP15HIP_vector_typeIfLj2EEffffjfiS5_IjLj3EEiiiiiiiiiiiliiliiiiil.kd
    .uniform_work_group_size: 1
    .uses_dynamic_stack: false
    .vgpr_count:     204
    .vgpr_spill_count: 0
    .wavefront_size: 32
amdhsa.target:   amdgcn-amd-amdhsa--gfx1250
amdhsa.version:
  - 1
  - 2
...

	.end_amdgpu_metadata
